;; amdgpu-corpus repo=ROCm/rocFFT kind=compiled arch=gfx1030 opt=O3
	.text
	.amdgcn_target "amdgcn-amd-amdhsa--gfx1030"
	.amdhsa_code_object_version 6
	.protected	fft_rtc_back_len4050_factors_10_5_3_3_3_3_wgs_135_tpt_135_halfLds_sp_op_CI_CI_unitstride_sbrr_dirReg ; -- Begin function fft_rtc_back_len4050_factors_10_5_3_3_3_3_wgs_135_tpt_135_halfLds_sp_op_CI_CI_unitstride_sbrr_dirReg
	.globl	fft_rtc_back_len4050_factors_10_5_3_3_3_3_wgs_135_tpt_135_halfLds_sp_op_CI_CI_unitstride_sbrr_dirReg
	.p2align	8
	.type	fft_rtc_back_len4050_factors_10_5_3_3_3_3_wgs_135_tpt_135_halfLds_sp_op_CI_CI_unitstride_sbrr_dirReg,@function
fft_rtc_back_len4050_factors_10_5_3_3_3_3_wgs_135_tpt_135_halfLds_sp_op_CI_CI_unitstride_sbrr_dirReg: ; @fft_rtc_back_len4050_factors_10_5_3_3_3_3_wgs_135_tpt_135_halfLds_sp_op_CI_CI_unitstride_sbrr_dirReg
; %bb.0:
	s_clause 0x2
	s_load_dwordx4 s[12:15], s[4:5], 0x0
	s_load_dwordx4 s[8:11], s[4:5], 0x58
	;; [unrolled: 1-line block ×3, first 2 shown]
	v_mul_u32_u24_e32 v2, 0x1e6, v0
	v_mov_b32_e32 v1, 0
	v_mov_b32_e32 v34, 0
	;; [unrolled: 1-line block ×3, first 2 shown]
	v_add_nc_u32_sdwa v8, s6, v2 dst_sel:DWORD dst_unused:UNUSED_PAD src0_sel:DWORD src1_sel:WORD_1
	v_mov_b32_e32 v9, v1
	s_waitcnt lgkmcnt(0)
	v_cmp_lt_u64_e64 s0, s[14:15], 2
	s_and_b32 vcc_lo, exec_lo, s0
	s_cbranch_vccnz .LBB0_8
; %bb.1:
	s_load_dwordx2 s[0:1], s[4:5], 0x10
	v_mov_b32_e32 v34, 0
	v_mov_b32_e32 v35, 0
	s_add_u32 s2, s18, 8
	s_addc_u32 s3, s19, 0
	v_mov_b32_e32 v4, v34
	s_add_u32 s6, s16, 8
	v_mov_b32_e32 v5, v35
	s_addc_u32 s7, s17, 0
	s_mov_b64 s[22:23], 1
	s_waitcnt lgkmcnt(0)
	s_add_u32 s20, s0, 8
	s_addc_u32 s21, s1, 0
.LBB0_2:                                ; =>This Inner Loop Header: Depth=1
	s_load_dwordx2 s[24:25], s[20:21], 0x0
                                        ; implicit-def: $vgpr6_vgpr7
	s_mov_b32 s0, exec_lo
	s_waitcnt lgkmcnt(0)
	v_or_b32_e32 v2, s25, v9
	v_cmpx_ne_u64_e32 0, v[1:2]
	s_xor_b32 s1, exec_lo, s0
	s_cbranch_execz .LBB0_4
; %bb.3:                                ;   in Loop: Header=BB0_2 Depth=1
	v_cvt_f32_u32_e32 v2, s24
	v_cvt_f32_u32_e32 v3, s25
	s_sub_u32 s0, 0, s24
	s_subb_u32 s26, 0, s25
	v_fmac_f32_e32 v2, 0x4f800000, v3
	v_rcp_f32_e32 v2, v2
	v_mul_f32_e32 v2, 0x5f7ffffc, v2
	v_mul_f32_e32 v3, 0x2f800000, v2
	v_trunc_f32_e32 v3, v3
	v_fmac_f32_e32 v2, 0xcf800000, v3
	v_cvt_u32_f32_e32 v3, v3
	v_cvt_u32_f32_e32 v2, v2
	v_mul_lo_u32 v6, s0, v3
	v_mul_hi_u32 v7, s0, v2
	v_mul_lo_u32 v10, s26, v2
	v_add_nc_u32_e32 v6, v7, v6
	v_mul_lo_u32 v7, s0, v2
	v_add_nc_u32_e32 v6, v6, v10
	v_mul_hi_u32 v10, v2, v7
	v_mul_lo_u32 v11, v2, v6
	v_mul_hi_u32 v12, v2, v6
	v_mul_hi_u32 v13, v3, v7
	v_mul_lo_u32 v7, v3, v7
	v_mul_hi_u32 v14, v3, v6
	v_mul_lo_u32 v6, v3, v6
	v_add_co_u32 v10, vcc_lo, v10, v11
	v_add_co_ci_u32_e32 v11, vcc_lo, 0, v12, vcc_lo
	v_add_co_u32 v7, vcc_lo, v10, v7
	v_add_co_ci_u32_e32 v7, vcc_lo, v11, v13, vcc_lo
	v_add_co_ci_u32_e32 v10, vcc_lo, 0, v14, vcc_lo
	v_add_co_u32 v6, vcc_lo, v7, v6
	v_add_co_ci_u32_e32 v7, vcc_lo, 0, v10, vcc_lo
	v_add_co_u32 v2, vcc_lo, v2, v6
	v_add_co_ci_u32_e32 v3, vcc_lo, v3, v7, vcc_lo
	v_mul_hi_u32 v6, s0, v2
	v_mul_lo_u32 v10, s26, v2
	v_mul_lo_u32 v7, s0, v3
	v_add_nc_u32_e32 v6, v6, v7
	v_mul_lo_u32 v7, s0, v2
	v_add_nc_u32_e32 v6, v6, v10
	v_mul_hi_u32 v10, v2, v7
	v_mul_lo_u32 v11, v2, v6
	v_mul_hi_u32 v12, v2, v6
	v_mul_hi_u32 v13, v3, v7
	v_mul_lo_u32 v7, v3, v7
	v_mul_hi_u32 v14, v3, v6
	v_mul_lo_u32 v6, v3, v6
	v_add_co_u32 v10, vcc_lo, v10, v11
	v_add_co_ci_u32_e32 v11, vcc_lo, 0, v12, vcc_lo
	v_add_co_u32 v7, vcc_lo, v10, v7
	v_add_co_ci_u32_e32 v7, vcc_lo, v11, v13, vcc_lo
	v_add_co_ci_u32_e32 v10, vcc_lo, 0, v14, vcc_lo
	v_add_co_u32 v6, vcc_lo, v7, v6
	v_add_co_ci_u32_e32 v7, vcc_lo, 0, v10, vcc_lo
	v_add_co_u32 v6, vcc_lo, v2, v6
	v_add_co_ci_u32_e32 v10, vcc_lo, v3, v7, vcc_lo
	v_mul_hi_u32 v12, v8, v6
	v_mad_u64_u32 v[6:7], null, v9, v6, 0
	v_mad_u64_u32 v[2:3], null, v8, v10, 0
	;; [unrolled: 1-line block ×3, first 2 shown]
	v_add_co_u32 v2, vcc_lo, v12, v2
	v_add_co_ci_u32_e32 v3, vcc_lo, 0, v3, vcc_lo
	v_add_co_u32 v2, vcc_lo, v2, v6
	v_add_co_ci_u32_e32 v2, vcc_lo, v3, v7, vcc_lo
	v_add_co_ci_u32_e32 v3, vcc_lo, 0, v11, vcc_lo
	v_add_co_u32 v6, vcc_lo, v2, v10
	v_add_co_ci_u32_e32 v7, vcc_lo, 0, v3, vcc_lo
	v_mul_lo_u32 v10, s25, v6
	v_mad_u64_u32 v[2:3], null, s24, v6, 0
	v_mul_lo_u32 v11, s24, v7
	v_sub_co_u32 v2, vcc_lo, v8, v2
	v_add3_u32 v3, v3, v11, v10
	v_sub_nc_u32_e32 v10, v9, v3
	v_subrev_co_ci_u32_e64 v10, s0, s25, v10, vcc_lo
	v_add_co_u32 v11, s0, v6, 2
	v_add_co_ci_u32_e64 v12, s0, 0, v7, s0
	v_sub_co_u32 v13, s0, v2, s24
	v_sub_co_ci_u32_e32 v3, vcc_lo, v9, v3, vcc_lo
	v_subrev_co_ci_u32_e64 v10, s0, 0, v10, s0
	v_cmp_le_u32_e32 vcc_lo, s24, v13
	v_cmp_eq_u32_e64 s0, s25, v3
	v_cndmask_b32_e64 v13, 0, -1, vcc_lo
	v_cmp_le_u32_e32 vcc_lo, s25, v10
	v_cndmask_b32_e64 v14, 0, -1, vcc_lo
	v_cmp_le_u32_e32 vcc_lo, s24, v2
	;; [unrolled: 2-line block ×3, first 2 shown]
	v_cndmask_b32_e64 v15, 0, -1, vcc_lo
	v_cmp_eq_u32_e32 vcc_lo, s25, v10
	v_cndmask_b32_e64 v2, v15, v2, s0
	v_cndmask_b32_e32 v10, v14, v13, vcc_lo
	v_add_co_u32 v13, vcc_lo, v6, 1
	v_add_co_ci_u32_e32 v14, vcc_lo, 0, v7, vcc_lo
	v_cmp_ne_u32_e32 vcc_lo, 0, v10
	v_cndmask_b32_e32 v3, v14, v12, vcc_lo
	v_cndmask_b32_e32 v10, v13, v11, vcc_lo
	v_cmp_ne_u32_e32 vcc_lo, 0, v2
	v_cndmask_b32_e32 v7, v7, v3, vcc_lo
	v_cndmask_b32_e32 v6, v6, v10, vcc_lo
.LBB0_4:                                ;   in Loop: Header=BB0_2 Depth=1
	s_andn2_saveexec_b32 s0, s1
	s_cbranch_execz .LBB0_6
; %bb.5:                                ;   in Loop: Header=BB0_2 Depth=1
	v_cvt_f32_u32_e32 v2, s24
	s_sub_i32 s1, 0, s24
	v_rcp_iflag_f32_e32 v2, v2
	v_mul_f32_e32 v2, 0x4f7ffffe, v2
	v_cvt_u32_f32_e32 v2, v2
	v_mul_lo_u32 v3, s1, v2
	v_mul_hi_u32 v3, v2, v3
	v_add_nc_u32_e32 v2, v2, v3
	v_mul_hi_u32 v2, v8, v2
	v_mul_lo_u32 v3, v2, s24
	v_add_nc_u32_e32 v6, 1, v2
	v_sub_nc_u32_e32 v3, v8, v3
	v_subrev_nc_u32_e32 v7, s24, v3
	v_cmp_le_u32_e32 vcc_lo, s24, v3
	v_cndmask_b32_e32 v3, v3, v7, vcc_lo
	v_cndmask_b32_e32 v2, v2, v6, vcc_lo
	v_mov_b32_e32 v7, v1
	v_cmp_le_u32_e32 vcc_lo, s24, v3
	v_add_nc_u32_e32 v6, 1, v2
	v_cndmask_b32_e32 v6, v2, v6, vcc_lo
.LBB0_6:                                ;   in Loop: Header=BB0_2 Depth=1
	s_or_b32 exec_lo, exec_lo, s0
	v_mul_lo_u32 v10, v7, s24
	v_mul_lo_u32 v11, v6, s25
	s_load_dwordx2 s[0:1], s[6:7], 0x0
	v_mad_u64_u32 v[2:3], null, v6, s24, 0
	s_load_dwordx2 s[24:25], s[2:3], 0x0
	s_add_u32 s22, s22, 1
	s_addc_u32 s23, s23, 0
	s_add_u32 s2, s2, 8
	s_addc_u32 s3, s3, 0
	s_add_u32 s6, s6, 8
	v_add3_u32 v3, v3, v11, v10
	v_sub_co_u32 v2, vcc_lo, v8, v2
	s_addc_u32 s7, s7, 0
	s_add_u32 s20, s20, 8
	v_sub_co_ci_u32_e32 v3, vcc_lo, v9, v3, vcc_lo
	s_addc_u32 s21, s21, 0
	s_waitcnt lgkmcnt(0)
	v_mul_lo_u32 v8, s0, v3
	v_mul_lo_u32 v9, s1, v2
	v_mad_u64_u32 v[34:35], null, s0, v2, v[34:35]
	v_mul_lo_u32 v3, s24, v3
	v_mul_lo_u32 v10, s25, v2
	v_mad_u64_u32 v[4:5], null, s24, v2, v[4:5]
	v_cmp_ge_u64_e64 s0, s[22:23], s[14:15]
	v_add3_u32 v35, v9, v35, v8
	v_add3_u32 v5, v10, v5, v3
	s_and_b32 vcc_lo, exec_lo, s0
	s_cbranch_vccnz .LBB0_9
; %bb.7:                                ;   in Loop: Header=BB0_2 Depth=1
	v_mov_b32_e32 v9, v7
	v_mov_b32_e32 v8, v6
	s_branch .LBB0_2
.LBB0_8:
	v_mov_b32_e32 v4, v34
	v_mov_b32_e32 v6, v8
	;; [unrolled: 1-line block ×4, first 2 shown]
.LBB0_9:
	s_load_dwordx2 s[0:1], s[4:5], 0x28
	v_mul_hi_u32 v2, 0x1e573ad, v0
	s_lshl_b64 s[4:5], s[14:15], 3
                                        ; implicit-def: $vgpr71
	s_add_u32 s2, s18, s4
	s_addc_u32 s3, s19, s5
	s_waitcnt lgkmcnt(0)
	v_cmp_gt_u64_e32 vcc_lo, s[0:1], v[6:7]
	v_cmp_le_u64_e64 s0, s[0:1], v[6:7]
	s_and_saveexec_b32 s1, s0
	s_xor_b32 s0, exec_lo, s1
; %bb.10:
	v_mul_u32_u24_e32 v1, 0x87, v2
                                        ; implicit-def: $vgpr2
                                        ; implicit-def: $vgpr34_vgpr35
	v_sub_nc_u32_e32 v71, v0, v1
                                        ; implicit-def: $vgpr0
; %bb.11:
	s_or_saveexec_b32 s1, s0
                                        ; implicit-def: $vgpr23
                                        ; implicit-def: $vgpr21
                                        ; implicit-def: $vgpr33
                                        ; implicit-def: $vgpr17
                                        ; implicit-def: $vgpr38
                                        ; implicit-def: $vgpr15
                                        ; implicit-def: $vgpr60
                                        ; implicit-def: $vgpr13
                                        ; implicit-def: $vgpr9
                                        ; implicit-def: $vgpr1
                                        ; implicit-def: $vgpr29
                                        ; implicit-def: $vgpr40
                                        ; implicit-def: $vgpr44
                                        ; implicit-def: $vgpr42
                                        ; implicit-def: $vgpr36
                                        ; implicit-def: $vgpr27
                                        ; implicit-def: $vgpr62
                                        ; implicit-def: $vgpr19
                                        ; implicit-def: $vgpr31
                                        ; implicit-def: $vgpr3
                                        ; implicit-def: $vgpr50
                                        ; implicit-def: $vgpr54
                                        ; implicit-def: $vgpr58
                                        ; implicit-def: $vgpr56
                                        ; implicit-def: $vgpr52
                                        ; implicit-def: $vgpr46
                                        ; implicit-def: $vgpr64
                                        ; implicit-def: $vgpr11
                                        ; implicit-def: $vgpr48
                                        ; implicit-def: $vgpr25
	s_xor_b32 exec_lo, exec_lo, s1
	s_cbranch_execz .LBB0_13
; %bb.12:
	s_add_u32 s4, s16, s4
	s_addc_u32 s5, s17, s5
	s_load_dwordx2 s[4:5], s[4:5], 0x0
	s_waitcnt lgkmcnt(0)
	v_mul_lo_u32 v1, s5, v6
	v_mul_lo_u32 v3, s4, v7
	v_mad_u64_u32 v[8:9], null, s4, v6, 0
	v_add3_u32 v9, v9, v3, v1
	v_mul_u32_u24_e32 v3, 0x87, v2
	v_lshlrev_b64 v[1:2], 3, v[8:9]
	v_lshlrev_b64 v[8:9], 3, v[34:35]
	v_sub_nc_u32_e32 v71, v0, v3
	v_add_co_u32 v0, s0, s8, v1
	v_add_co_ci_u32_e64 v1, s0, s9, v2, s0
	v_lshlrev_b32_e32 v2, 3, v71
	v_add_co_u32 v0, s0, v0, v8
	v_add_co_ci_u32_e64 v1, s0, v1, v9, s0
	v_add_co_u32 v20, s0, v0, v2
	v_add_co_ci_u32_e64 v21, s0, 0, v1, s0
	s_clause 0x1
	global_load_dwordx2 v[24:25], v[20:21], off
	global_load_dwordx2 v[2:3], v[20:21], off offset:1080
	v_add_co_u32 v0, s0, 0x800, v20
	v_add_co_ci_u32_e64 v1, s0, 0, v21, s0
	v_add_co_u32 v8, s0, 0x1800, v20
	v_add_co_ci_u32_e64 v9, s0, 0, v21, s0
	;; [unrolled: 2-line block ×10, first 2 shown]
	s_clause 0x1
	global_load_dwordx2 v[10:11], v[8:9], off offset:336
	global_load_dwordx2 v[18:19], v[8:9], off offset:1416
	v_add_co_u32 v8, s0, 0x2800, v20
	v_add_co_ci_u32_e64 v9, s0, 0, v21, s0
	v_add_co_u32 v49, s0, 0x4000, v20
	v_add_co_ci_u32_e64 v50, s0, 0, v21, s0
	;; [unrolled: 2-line block ×3, first 2 shown]
	v_add_co_u32 v67, s0, 0x6800, v20
	s_clause 0x1
	global_load_dwordx2 v[45:46], v[14:15], off offset:672
	global_load_dwordx2 v[26:27], v[14:15], off offset:1752
	v_add_co_ci_u32_e64 v68, s0, 0, v21, s0
	s_clause 0xf
	global_load_dwordx2 v[30:31], v[37:38], off offset:224
	global_load_dwordx2 v[28:29], v[43:44], off offset:1568
	;; [unrolled: 1-line block ×16, first 2 shown]
	v_add_co_u32 v69, s0, 0x7800, v20
	v_add_co_ci_u32_e64 v70, s0, 0, v21, s0
	s_clause 0x7
	global_load_dwordx2 v[49:50], v[43:44], off offset:488
	global_load_dwordx2 v[53:54], v[65:66], off offset:1344
	;; [unrolled: 1-line block ×8, first 2 shown]
.LBB0_13:
	s_or_b32 exec_lo, exec_lo, s1
	s_waitcnt vmcnt(5)
	v_add_f32_e32 v34, v55, v45
	v_add_f32_e32 v65, v53, v10
	;; [unrolled: 1-line block ×3, first 2 shown]
	v_sub_f32_e32 v67, v55, v53
	v_sub_f32_e32 v69, v46, v56
	v_fma_f32 v34, -0.5, v34, v24
	v_fmac_f32_e32 v24, -0.5, v65
	v_sub_f32_e32 v65, v45, v10
	s_waitcnt vmcnt(4)
	v_sub_f32_e32 v75, v49, v57
	v_sub_f32_e32 v70, v11, v54
	v_sub_f32_e32 v72, v10, v45
	v_fmamk_f32 v68, v69, 0x3f737871, v24
	v_add_f32_e32 v65, v67, v65
	v_add_f32_e32 v67, v57, v51
	v_sub_f32_e32 v73, v53, v55
	v_fmac_f32_e32 v24, 0xbf737871, v69
	v_add_f32_e32 v74, v49, v63
	v_sub_f32_e32 v76, v51, v63
	v_fma_f32 v83, -0.5, v67, v47
	v_sub_f32_e32 v67, v63, v51
	v_sub_f32_e32 v78, v57, v49
	v_add_f32_e32 v79, v50, v64
	v_add_f32_e32 v77, v63, v47
	v_fmac_f32_e32 v68, 0xbf167918, v70
	v_add_f32_e32 v75, v75, v67
	v_add_f32_e32 v67, v58, v52
	;; [unrolled: 1-line block ×3, first 2 shown]
	v_fmac_f32_e32 v24, 0x3f167918, v70
	v_sub_f32_e32 v73, v52, v58
	v_fmac_f32_e32 v47, -0.5, v74
	v_sub_f32_e32 v74, v64, v50
	v_add_f32_e32 v76, v78, v76
	v_fma_f32 v84, -0.5, v67, v48
	v_add_f32_e32 v67, v64, v48
	v_fmac_f32_e32 v48, -0.5, v79
	v_sub_f32_e32 v80, v51, v57
	v_sub_f32_e32 v78, v64, v52
	;; [unrolled: 1-line block ×5, first 2 shown]
	v_fmac_f32_e32 v68, 0x3e9e377a, v65
	v_fmac_f32_e32 v24, 0x3e9e377a, v65
	v_fmamk_f32 v65, v73, 0x3f737871, v47
	v_fmac_f32_e32 v47, 0xbf737871, v73
	v_fmamk_f32 v63, v80, 0xbf737871, v48
	v_fmac_f32_e32 v48, 0x3f737871, v80
	v_sub_f32_e32 v82, v50, v58
	v_add_f32_e32 v81, v81, v64
	v_fmamk_f32 v64, v79, 0x3f737871, v84
	v_fmac_f32_e32 v65, 0xbf167918, v74
	v_fmac_f32_e32 v47, 0x3f167918, v74
	;; [unrolled: 1-line block ×4, first 2 shown]
	v_add_f32_e32 v82, v82, v78
	v_add_f32_e32 v78, v45, v66
	v_fmamk_f32 v66, v74, 0xbf737871, v83
	v_fmac_f32_e32 v64, 0x3f167918, v80
	v_fmac_f32_e32 v65, 0x3e9e377a, v76
	;; [unrolled: 1-line block ×5, first 2 shown]
	v_fmamk_f32 v76, v70, 0xbf737871, v34
	v_add_f32_e32 v51, v51, v77
	v_fmac_f32_e32 v66, 0xbf167918, v73
	v_fmac_f32_e32 v64, 0x3e9e377a, v82
	v_add_f32_e32 v77, v55, v78
	v_fmac_f32_e32 v76, 0xbf167918, v69
	v_add_f32_e32 v78, v57, v51
	v_fmac_f32_e32 v66, 0x3e9e377a, v75
	v_mul_f32_e32 v86, 0xbf167918, v64
	v_mul_f32_e32 v57, 0xbf737871, v63
	;; [unrolled: 1-line block ×3, first 2 shown]
	v_add_f32_e32 v81, v53, v77
	v_fmac_f32_e32 v76, 0x3e9e377a, v72
	v_add_f32_e32 v49, v49, v78
	v_fmac_f32_e32 v86, 0x3f4f1bbd, v66
	v_fmac_f32_e32 v57, 0x3e9e377a, v65
	;; [unrolled: 1-line block ×5, first 2 shown]
	v_mul_u32_u24_e32 v74, 10, v71
	v_fmac_f32_e32 v34, 0x3f737871, v70
	v_add_f32_e32 v77, v49, v81
	v_add_f32_e32 v78, v76, v86
	;; [unrolled: 1-line block ×3, first 2 shown]
	v_fmac_f32_e32 v84, 0xbf167918, v80
	v_add_f32_e32 v80, v24, v51
	v_lshl_add_u32 v85, v74, 2, 0
	v_fmac_f32_e32 v34, 0x3f167918, v69
	v_add_f32_e32 v69, v41, v26
	v_add_f32_e32 v70, v39, v18
	v_fmac_f32_e32 v83, 0x3f167918, v73
	ds_write2_b64 v85, v[77:78], v[79:80] offset1:1
	v_add_f32_e32 v73, v18, v2
	v_fma_f32 v78, -0.5, v69, v2
	v_fmac_f32_e32 v2, -0.5, v70
	v_sub_f32_e32 v77, v27, v42
	v_fmac_f32_e32 v83, 0x3e9e377a, v75
	v_fmac_f32_e32 v34, 0x3e9e377a, v72
	v_sub_f32_e32 v70, v81, v49
	v_sub_f32_e32 v49, v26, v18
	;; [unrolled: 1-line block ×3, first 2 shown]
	v_fmamk_f32 v79, v77, 0x3f737871, v2
	v_sub_f32_e32 v80, v19, v40
	v_sub_f32_e32 v74, v18, v26
	;; [unrolled: 1-line block ×3, first 2 shown]
	v_fmac_f32_e32 v2, 0xbf737871, v77
	v_add_f32_e32 v49, v72, v49
	v_fmac_f32_e32 v79, 0xbf167918, v80
	v_sub_f32_e32 v72, v76, v86
	v_add_f32_e32 v76, v75, v74
	v_fmac_f32_e32 v2, 0x3f167918, v80
	s_waitcnt vmcnt(3)
	v_add_f32_e32 v74, v43, v35
	v_add_f32_e32 v75, v28, v61
	v_sub_f32_e32 v81, v61, v35
	v_sub_f32_e32 v87, v28, v43
	v_fmac_f32_e32 v79, 0x3e9e377a, v49
	v_fma_f32 v86, -0.5, v74, v30
	v_add_f32_e32 v74, v61, v30
	v_fmac_f32_e32 v30, -0.5, v75
	v_fmac_f32_e32 v2, 0x3e9e377a, v49
	v_add_f32_e32 v49, v87, v81
	v_sub_f32_e32 v75, v35, v61
	v_sub_f32_e32 v81, v43, v28
	v_add_f32_e32 v89, v44, v36
	v_add_f32_e32 v95, v62, v31
	v_sub_f32_e32 v88, v36, v44
	v_sub_f32_e32 v87, v62, v29
	v_add_f32_e32 v75, v81, v75
	v_add_f32_e32 v81, v29, v62
	v_fma_f32 v94, -0.5, v89, v31
	v_sub_f32_e32 v89, v61, v28
	v_sub_f32_e32 v61, v36, v62
	;; [unrolled: 1-line block ×3, first 2 shown]
	v_fmac_f32_e32 v31, -0.5, v81
	v_sub_f32_e32 v81, v35, v43
	v_sub_f32_e32 v62, v62, v36
	;; [unrolled: 1-line block ×3, first 2 shown]
	v_fmamk_f32 v97, v89, 0x3f737871, v94
	v_fmac_f32_e32 v84, 0x3e9e377a, v82
	v_fmamk_f32 v96, v81, 0xbf737871, v31
	v_fmac_f32_e32 v31, 0x3f737871, v81
	;; [unrolled: 2-line block ×3, first 2 shown]
	v_add_f32_e32 v61, v90, v61
	v_fmac_f32_e32 v96, 0x3f167918, v89
	v_fmac_f32_e32 v31, 0xbf167918, v89
	v_add_f32_e32 v90, v91, v62
	v_fmamk_f32 v98, v87, 0xbf737871, v86
	v_fmac_f32_e32 v97, 0x3f167918, v81
	v_mul_f32_e32 v82, 0xbf167918, v84
	v_fmac_f32_e32 v93, 0xbf167918, v87
	v_fmac_f32_e32 v30, 0x3f167918, v87
	;; [unrolled: 1-line block ×4, first 2 shown]
	v_add_f32_e32 v61, v26, v73
	v_fmamk_f32 v91, v80, 0xbf737871, v78
	v_add_f32_e32 v35, v35, v74
	v_fmac_f32_e32 v98, 0xbf167918, v88
	v_fmac_f32_e32 v97, 0x3e9e377a, v90
	;; [unrolled: 1-line block ×6, first 2 shown]
	v_add_f32_e32 v61, v41, v61
	v_fmac_f32_e32 v91, 0xbf167918, v77
	v_add_f32_e32 v35, v43, v35
	v_fmac_f32_e32 v98, 0x3e9e377a, v49
	v_mul_f32_e32 v92, 0xbf167918, v97
	v_mul_f32_e32 v99, 0xbf737871, v96
	;; [unrolled: 1-line block ×3, first 2 shown]
	v_fmac_f32_e32 v86, 0x3f167918, v88
	v_add_f32_e32 v69, v34, v82
	v_add_f32_e32 v43, v39, v61
	v_fmac_f32_e32 v91, 0x3e9e377a, v76
	v_add_f32_e32 v35, v28, v35
	v_fmac_f32_e32 v92, 0x3f4f1bbd, v98
	v_fmac_f32_e32 v99, 0x3e9e377a, v93
	;; [unrolled: 1-line block ×3, first 2 shown]
	v_sub_f32_e32 v73, v68, v57
	v_add_f32_e32 v57, v16, v14
	v_fmac_f32_e32 v86, 0x3e9e377a, v49
	s_waitcnt vmcnt(1)
	v_add_f32_e32 v49, v20, v12
	v_add_f32_e32 v61, v35, v43
	;; [unrolled: 1-line block ×5, first 2 shown]
	v_add_nc_u32_e32 v28, 0x1518, v85
	ds_write2_b64 v85, v[69:70], v[72:73] offset0:2 offset1:3
	v_sub_f32_e32 v68, v12, v14
	v_sub_f32_e32 v69, v20, v16
	v_fma_f32 v57, -0.5, v57, v0
	v_add_f32_e32 v70, v12, v0
	v_fmac_f32_e32 v0, -0.5, v49
	v_sub_f32_e32 v49, v15, v17
	v_fmac_f32_e32 v78, 0x3f737871, v80
	ds_write2_b64 v28, v[61:62], v[74:75] offset1:1
	v_add_f32_e32 v74, v69, v68
	v_sub_f32_e32 v68, v14, v12
	v_sub_f32_e32 v69, v16, v20
	v_fmamk_f32 v75, v49, 0x3f737871, v0
	v_sub_f32_e32 v72, v13, v21
	v_fmac_f32_e32 v0, 0xbf737871, v49
	v_fmac_f32_e32 v78, 0x3f167918, v77
	v_add_f32_e32 v73, v32, v37
	v_add_f32_e32 v68, v69, v68
	s_waitcnt vmcnt(0)
	v_add_f32_e32 v69, v22, v59
	v_fmac_f32_e32 v75, 0xbf167918, v72
	v_fmac_f32_e32 v0, 0x3f167918, v72
	;; [unrolled: 1-line block ×3, first 2 shown]
	v_sub_f32_e32 v62, v79, v99
	v_fmac_f32_e32 v78, 0x3e9e377a, v76
	v_fma_f32 v99, -0.5, v73, v8
	v_add_f32_e32 v73, v59, v8
	v_fmac_f32_e32 v8, -0.5, v69
	v_sub_f32_e32 v69, v38, v33
	v_fmac_f32_e32 v75, 0x3e9e377a, v68
	v_fmac_f32_e32 v0, 0x3e9e377a, v68
	v_sub_f32_e32 v68, v37, v59
	v_sub_f32_e32 v76, v32, v22
	v_fmac_f32_e32 v94, 0xbf167918, v81
	v_fmamk_f32 v101, v69, 0x3f737871, v8
	v_sub_f32_e32 v77, v60, v23
	v_fmac_f32_e32 v8, 0xbf737871, v69
	v_sub_f32_e32 v80, v59, v37
	v_sub_f32_e32 v81, v22, v32
	v_add_f32_e32 v68, v76, v68
	v_add_f32_e32 v76, v33, v38
	v_fmac_f32_e32 v101, 0xbf167918, v77
	v_fmac_f32_e32 v8, 0x3f167918, v77
	v_add_f32_e32 v80, v81, v80
	v_add_f32_e32 v81, v23, v60
	v_fma_f32 v102, -0.5, v76, v9
	v_sub_f32_e32 v87, v59, v22
	v_fmac_f32_e32 v101, 0x3e9e377a, v68
	v_fmac_f32_e32 v8, 0x3e9e377a, v68
	v_add_f32_e32 v103, v60, v9
	v_fmac_f32_e32 v9, -0.5, v81
	v_sub_f32_e32 v68, v37, v32
	v_sub_f32_e32 v76, v60, v38
	;; [unrolled: 1-line block ×5, first 2 shown]
	v_fmamk_f32 v105, v87, 0x3f737871, v102
	v_fmamk_f32 v106, v77, 0xbf737871, v99
	v_add_f32_e32 v37, v37, v73
	v_add_f32_e32 v81, v81, v60
	v_sub_f32_e32 v60, v43, v35
	v_add_f32_e32 v35, v88, v76
	v_add_f32_e32 v43, v14, v70
	v_fmac_f32_e32 v105, 0x3f167918, v68
	v_fmamk_f32 v70, v72, 0xbf737871, v57
	v_fmac_f32_e32 v106, 0xbf167918, v69
	v_fmamk_f32 v104, v68, 0xbf737871, v9
	v_add_f32_e32 v43, v16, v43
	v_fmac_f32_e32 v105, 0x3e9e377a, v35
	v_fmac_f32_e32 v9, 0x3f737871, v68
	v_fmac_f32_e32 v102, 0xbf737871, v87
	v_fmac_f32_e32 v70, 0xbf167918, v49
	v_add_f32_e32 v32, v32, v37
	v_add_f32_e32 v37, v20, v43
	v_fmac_f32_e32 v106, 0x3e9e377a, v80
	v_mul_f32_e32 v43, 0xbf167918, v105
	v_fmac_f32_e32 v104, 0x3f167918, v87
	v_fmac_f32_e32 v9, 0xbf167918, v87
	;; [unrolled: 1-line block ×12, first 2 shown]
	v_mul_f32_e32 v79, 0xbf167918, v94
	v_add_f32_e32 v22, v22, v32
	v_add_f32_e32 v69, v70, v43
	v_sub_f32_e32 v72, v70, v43
	v_add_f32_e32 v35, v52, v67
	v_add_f32_e32 v43, v56, v46
	v_sub_f32_e32 v52, v10, v53
	v_add_f32_e32 v10, v54, v11
	v_mul_f32_e32 v76, 0xbf737871, v104
	v_mul_f32_e32 v81, 0xbf737871, v9
	v_fmac_f32_e32 v57, 0x3f167918, v49
	v_fmac_f32_e32 v99, 0x3e9e377a, v80
	v_mul_f32_e32 v32, 0xbf167918, v102
	v_fmac_f32_e32 v79, 0xbf4f1bbd, v86
	v_add_f32_e32 v68, v22, v37
	v_sub_f32_e32 v77, v37, v22
	v_add_f32_e32 v37, v11, v25
	v_sub_f32_e32 v49, v45, v55
	v_fma_f32 v109, -0.5, v43, v25
	v_fmac_f32_e32 v25, -0.5, v10
	v_fmac_f32_e32 v76, 0x3e9e377a, v101
	v_fmac_f32_e32 v81, 0xbe9e377a, v8
	;; [unrolled: 1-line block ×4, first 2 shown]
	v_sub_f32_e32 v61, v91, v92
	v_add_f32_e32 v59, v78, v79
	v_add_nc_u32_e32 v107, 0x1528, v85
	v_add_f32_e32 v37, v46, v37
	v_sub_f32_e32 v45, v11, v46
	v_sub_f32_e32 v46, v46, v11
	;; [unrolled: 1-line block ×5, first 2 shown]
	v_fmamk_f32 v111, v49, 0xbf737871, v25
	v_fmac_f32_e32 v25, 0x3f737871, v49
	v_sub_f32_e32 v73, v75, v76
	v_add_f32_e32 v74, v75, v76
	v_add_f32_e32 v75, v0, v81
	v_add_nc_u32_e32 v108, 0x2a30, v85
	v_add_f32_e32 v76, v57, v32
	v_add_nc_u32_e32 v22, 0x2a40, v85
	ds_write2_b64 v107, v[59:60], v[61:62] offset1:1
	ds_write2_b64 v108, v[68:69], v[74:75] offset1:1
	;; [unrolled: 1-line block ×3, first 2 shown]
	v_sub_f32_e32 v53, v54, v56
	ds_write_b64 v85, v[10:11] offset:32
	v_add_f32_e32 v10, v55, v46
	v_fmac_f32_e32 v111, 0x3f167918, v52
	v_fmac_f32_e32 v25, 0xbf167918, v52
	v_fmamk_f32 v114, v52, 0x3f737871, v109
	v_add_f32_e32 v35, v58, v35
	v_add_f32_e32 v37, v56, v37
	v_mul_f32_e32 v110, 0xbe9e377a, v48
	v_mul_f32_e32 v112, 0x3f167918, v66
	v_add_f32_e32 v113, v53, v45
	v_fmac_f32_e32 v111, 0x3e9e377a, v10
	v_fmac_f32_e32 v25, 0x3e9e377a, v10
	;; [unrolled: 1-line block ×3, first 2 shown]
	v_sub_f32_e32 v10, v2, v100
	v_mul_f32_e32 v2, 0x3f737871, v65
	v_fmac_f32_e32 v109, 0xbf737871, v52
	v_add_f32_e32 v91, v54, v37
	v_add_f32_e32 v92, v50, v35
	v_fmac_f32_e32 v110, 0x3f737871, v47
	v_fmac_f32_e32 v112, 0x3f4f1bbd, v64
	v_sub_f32_e32 v34, v0, v81
	v_fmac_f32_e32 v114, 0x3e9e377a, v113
	v_fmac_f32_e32 v2, 0x3e9e377a, v63
	v_mad_i32_i24 v37, 0xffffffdc, v71, v85
	v_fmac_f32_e32 v109, 0xbf167918, v49
	v_mul_f32_e32 v0, 0xbf4f1bbd, v84
	v_sub_f32_e32 v11, v78, v79
	v_sub_f32_e32 v35, v57, v32
	v_add_f32_e32 v87, v92, v91
	v_add_f32_e32 v88, v114, v112
	;; [unrolled: 1-line block ×4, first 2 shown]
	v_add_nc_u32_e32 v78, 0x3600, v37
	v_add_nc_u32_e32 v80, 0x2e00, v37
	v_fmac_f32_e32 v109, 0x3e9e377a, v113
	v_fmac_f32_e32 v0, 0x3f167918, v83
	v_sub_f32_e32 v84, v111, v2
	v_add_f32_e32 v2, v36, v95
	v_add_f32_e32 v36, v19, v3
	v_add_nc_u32_e32 v32, 0xc00, v37
	v_add_nc_u32_e32 v79, 0x800, v37
	;; [unrolled: 1-line block ×8, first 2 shown]
	s_load_dwordx2 s[2:3], s[2:3], 0x0
	ds_write_b64 v85, v[10:11] offset:5432
	ds_write_b64 v85, v[34:35] offset:10832
	s_waitcnt lgkmcnt(0)
	s_barrier
	buffer_gl0_inv
	v_add_nc_u32_e32 v75, 0x400, v37
	v_add_nc_u32_e32 v24, 0x1000, v37
	;; [unrolled: 1-line block ×4, first 2 shown]
	ds_read2_b32 v[45:46], v37 offset1:135
	ds_read2_b32 v[69:70], v32 offset0:42 offset1:177
	ds_read2_b32 v[67:68], v73 offset0:84 offset1:219
	;; [unrolled: 1-line block ×14, first 2 shown]
	s_waitcnt lgkmcnt(0)
	s_barrier
	v_sub_f32_e32 v92, v91, v92
	v_add_f32_e32 v91, v109, v0
	buffer_gl0_inv
	ds_write2_b64 v85, v[87:88], v[89:90] offset1:1
	v_sub_f32_e32 v87, v25, v110
	v_sub_f32_e32 v88, v109, v0
	v_add_f32_e32 v0, v44, v2
	v_add_f32_e32 v2, v27, v36
	;; [unrolled: 1-line block ×3, first 2 shown]
	v_sub_f32_e32 v36, v19, v27
	v_sub_f32_e32 v27, v27, v19
	v_add_f32_e32 v19, v40, v19
	v_sub_f32_e32 v26, v26, v41
	v_sub_f32_e32 v18, v18, v39
	v_add_f32_e32 v2, v42, v2
	v_sub_f32_e32 v39, v40, v42
	v_sub_f32_e32 v41, v42, v40
	v_fma_f32 v42, -0.5, v25, v3
	v_fmac_f32_e32 v3, -0.5, v19
	v_add_f32_e32 v0, v29, v0
	v_add_f32_e32 v40, v40, v2
	;; [unrolled: 1-line block ×3, first 2 shown]
	v_fmamk_f32 v25, v18, 0x3f737871, v42
	v_fmac_f32_e32 v42, 0xbf737871, v18
	v_fmamk_f32 v29, v26, 0xbf737871, v3
	v_fmac_f32_e32 v3, 0x3f737871, v26
	v_add_f32_e32 v19, v41, v27
	v_fmac_f32_e32 v25, 0x3f167918, v26
	v_fmac_f32_e32 v42, 0xbf167918, v26
	;; [unrolled: 1-line block ×3, first 2 shown]
	v_mul_f32_e32 v26, 0x3f737871, v93
	v_mul_f32_e32 v27, 0x3f167918, v98
	;; [unrolled: 1-line block ×3, first 2 shown]
	v_fmac_f32_e32 v3, 0xbf167918, v18
	v_fmac_f32_e32 v25, 0x3e9e377a, v2
	;; [unrolled: 1-line block ×7, first 2 shown]
	v_add_f32_e32 v44, v38, v103
	v_add_f32_e32 v18, v29, v26
	v_sub_f32_e32 v30, v29, v26
	v_sub_f32_e32 v29, v25, v27
	v_add_f32_e32 v26, v25, v27
	v_add_f32_e32 v27, v13, v1
	v_fmac_f32_e32 v42, 0x3e9e377a, v2
	v_add_f32_e32 v19, v3, v31
	v_sub_f32_e32 v2, v3, v31
	v_add_f32_e32 v31, v17, v15
	v_add_f32_e32 v27, v15, v27
	;; [unrolled: 1-line block ×3, first 2 shown]
	v_sub_f32_e32 v39, v40, v0
	v_add_f32_e32 v0, v33, v44
	v_sub_f32_e32 v14, v14, v16
	v_sub_f32_e32 v16, v13, v15
	;; [unrolled: 1-line block ×4, first 2 shown]
	v_add_f32_e32 v20, v17, v27
	v_add_f32_e32 v13, v21, v13
	v_fma_f32 v27, -0.5, v31, v1
	v_sub_f32_e32 v83, v114, v112
	v_sub_f32_e32 v31, v21, v17
	;; [unrolled: 1-line block ×3, first 2 shown]
	v_add_f32_e32 v20, v21, v20
	v_add_f32_e32 v21, v23, v0
	v_fmamk_f32 v0, v12, 0x3f737871, v27
	v_fmac_f32_e32 v27, 0xbf737871, v12
	v_mul_f32_e32 v23, 0xbe9e377a, v9
	v_fmac_f32_e32 v1, -0.5, v13
	ds_write2_b64 v85, v[91:92], v[83:84] offset0:2 offset1:3
	v_mul_f32_e32 v36, 0xbf4f1bbd, v94
	v_add_f32_e32 v9, v31, v16
	v_fmac_f32_e32 v0, 0x3f167918, v14
	v_fmac_f32_e32 v27, 0xbf167918, v14
	;; [unrolled: 1-line block ×3, first 2 shown]
	v_fmamk_f32 v8, v14, 0xbf737871, v1
	v_and_b32_e32 v83, 0xff, v71
	v_fmac_f32_e32 v36, 0x3f167918, v86
	v_fmac_f32_e32 v1, 0x3f737871, v14
	;; [unrolled: 1-line block ×4, first 2 shown]
	v_mul_f32_e32 v13, 0x3f167918, v106
	v_add_f32_e32 v9, v17, v15
	v_mul_f32_e32 v14, 0x3f737871, v101
	v_fmac_f32_e32 v8, 0x3f167918, v12
	v_mul_lo_u16 v17, 0xcd, v83
	v_add_f32_e32 v38, v42, v36
	v_sub_f32_e32 v3, v42, v36
	v_fmac_f32_e32 v1, 0xbf167918, v12
	v_fmac_f32_e32 v13, 0x3f4f1bbd, v105
	v_mul_f32_e32 v31, 0xbf4f1bbd, v102
	v_fmac_f32_e32 v14, 0x3e9e377a, v104
	v_fmac_f32_e32 v8, 0x3e9e377a, v9
	v_lshrrev_b16 v17, 11, v17
	v_add_nc_u32_e32 v42, 0x87, v71
	v_mov_b32_e32 v33, 0xcccd
	v_fmac_f32_e32 v1, 0x3e9e377a, v9
	v_fmac_f32_e32 v31, 0x3f167918, v99
	v_add_f32_e32 v9, v0, v13
	v_sub_f32_e32 v12, v0, v13
	v_sub_f32_e32 v13, v8, v14
	v_add_f32_e32 v15, v8, v14
	v_mul_lo_u16 v14, v17, 10
	ds_write_b64 v85, v[87:88] offset:32
	ds_write2_b64 v28, v[25:26], v[18:19] offset1:1
	v_mul_u32_u24_sdwa v18, v42, v33 dst_sel:DWORD dst_unused:UNUSED_PAD src0_sel:WORD_0 src1_sel:DWORD
	v_add_f32_e32 v16, v1, v23
	v_sub_f32_e32 v0, v1, v23
	v_add_f32_e32 v8, v21, v20
	v_sub_f32_e32 v1, v27, v31
	v_sub_nc_u16 v26, v71, v14
	v_lshrrev_b32_e32 v14, 19, v18
	v_sub_f32_e32 v21, v20, v21
	v_add_f32_e32 v20, v27, v31
	v_mov_b32_e32 v25, 5
	ds_write2_b64 v107, v[38:39], v[29:30] offset1:1
	ds_write_b64 v85, v[2:3] offset:5432
	ds_write2_b64 v108, v[8:9], v[15:16] offset1:1
	ds_write2_b64 v22, v[20:21], v[12:13] offset1:1
	ds_write_b64 v85, v[0:1] offset:10832
	v_mul_lo_u16 v0, v14, 10
	v_lshlrev_b32_sdwa v2, v25, v26 dst_sel:DWORD dst_unused:UNUSED_PAD src0_sel:DWORD src1_sel:BYTE_0
	v_add_nc_u32_e32 v44, 0x10e, v71
	s_waitcnt lgkmcnt(0)
	s_barrier
	v_sub_nc_u16 v15, v42, v0
	buffer_gl0_inv
	s_clause 0x1
	global_load_dwordx4 v[84:87], v2, s[12:13]
	global_load_dwordx4 v[106:109], v2, s[12:13] offset:16
	v_mul_u32_u24_sdwa v1, v44, v33 dst_sel:DWORD dst_unused:UNUSED_PAD src0_sel:WORD_0 src1_sel:DWORD
	v_lshlrev_b32_sdwa v0, v25, v15 dst_sel:DWORD dst_unused:UNUSED_PAD src0_sel:DWORD src1_sel:WORD_0
	v_add_nc_u32_e32 v36, 0x195, v71
	v_add_nc_u32_e32 v38, 0x21c, v71
	;; [unrolled: 1-line block ×3, first 2 shown]
	v_lshrrev_b32_e32 v19, 19, v1
	s_clause 0x1
	global_load_dwordx4 v[88:91], v0, s[12:13]
	global_load_dwordx4 v[110:113], v0, s[12:13] offset:16
	v_mul_u32_u24_sdwa v1, v36, v33 dst_sel:DWORD dst_unused:UNUSED_PAD src0_sel:WORD_0 src1_sel:DWORD
	v_mul_u32_u24_e32 v14, 0xc8, v14
	v_mul_lo_u16 v2, v19, 10
	v_mul_u32_u24_e32 v19, 0xc8, v19
	v_lshrrev_b32_e32 v12, 19, v1
	v_sub_nc_u16 v23, v44, v2
	v_mul_u32_u24_sdwa v2, v38, v33 dst_sel:DWORD dst_unused:UNUSED_PAD src0_sel:WORD_0 src1_sel:DWORD
	v_mul_lo_u16 v0, v12, 10
	v_mul_u32_u24_e32 v12, 0xc8, v12
	v_lshlrev_b32_sdwa v1, v25, v23 dst_sel:DWORD dst_unused:UNUSED_PAD src0_sel:DWORD src1_sel:WORD_0
	v_lshrrev_b32_e32 v22, 19, v2
	v_sub_nc_u16 v13, v36, v0
	s_clause 0x1
	global_load_dwordx4 v[114:117], v1, s[12:13]
	global_load_dwordx4 v[122:125], v1, s[12:13] offset:16
	v_mul_u32_u24_sdwa v1, v39, v33 dst_sel:DWORD dst_unused:UNUSED_PAD src0_sel:WORD_0 src1_sel:DWORD
	v_lshlrev_b32_sdwa v0, v25, v13 dst_sel:DWORD dst_unused:UNUSED_PAD src0_sel:DWORD src1_sel:WORD_0
	v_mul_lo_u16 v2, v22, 10
	v_lshrrev_b32_e32 v16, 19, v1
	s_clause 0x1
	global_load_dwordx4 v[118:121], v0, s[12:13]
	global_load_dwordx4 v[126:129], v0, s[12:13] offset:16
	v_sub_nc_u16 v28, v38, v2
	v_mul_lo_u16 v0, v16, 10
	v_lshlrev_b32_sdwa v1, v25, v28 dst_sel:DWORD dst_unused:UNUSED_PAD src0_sel:DWORD src1_sel:WORD_0
	v_sub_nc_u16 v18, v39, v0
	global_load_dwordx4 v[130:133], v1, s[12:13]
	v_lshlrev_b32_sdwa v0, v25, v18 dst_sel:DWORD dst_unused:UNUSED_PAD src0_sel:DWORD src1_sel:WORD_0
	s_clause 0x2
	global_load_dwordx4 v[134:137], v0, s[12:13]
	global_load_dwordx4 v[138:141], v1, s[12:13] offset:16
	global_load_dwordx4 v[0:3], v0, s[12:13] offset:16
	ds_read2_b32 v[8:9], v32 offset0:42 offset1:177
	ds_read2_b32 v[29:30], v73 offset0:84 offset1:219
	ds_read2_b32 v[31:32], v77 offset0:62 offset1:197
	ds_read2_b32 v[40:41], v74 offset0:40 offset1:175
	s_waitcnt vmcnt(11)
	v_mul_f32_e32 v25, v69, v85
	s_waitcnt lgkmcnt(3)
	v_mul_f32_e32 v20, v8, v85
	v_mul_f32_e32 v27, v67, v87
	s_waitcnt lgkmcnt(2)
	v_mul_f32_e32 v21, v29, v87
	v_fma_f32 v104, v8, v84, -v25
	v_fmac_f32_e32 v20, v69, v84
	v_fma_f32 v105, v29, v86, -v27
	s_waitcnt vmcnt(9)
	v_mul_f32_e32 v8, v70, v89
	v_mul_f32_e32 v99, v9, v89
	;; [unrolled: 1-line block ×5, first 2 shown]
	v_fma_f32 v95, v9, v88, -v8
	ds_read2_b32 v[8:9], v24 offset0:56 offset1:191
	s_waitcnt lgkmcnt(2)
	v_mul_f32_e32 v24, v31, v107
	v_fmac_f32_e32 v99, v70, v88
	ds_read2_b32 v[69:70], v76 offset0:98 offset1:233
	s_waitcnt vmcnt(8)
	v_mul_f32_e32 v103, v32, v111
	v_mul_f32_e32 v101, v30, v91
	v_fmac_f32_e32 v24, v65, v106
	v_fma_f32 v106, v31, v106, -v27
	v_mul_f32_e32 v27, v66, v111
	v_fma_f32 v98, v30, v90, -v25
	s_waitcnt lgkmcnt(2)
	v_mul_f32_e32 v25, v40, v109
	v_fma_f32 v107, v40, v108, -v29
	v_mul_f32_e32 v102, v41, v113
	v_fma_f32 v96, v32, v110, -v27
	v_mul_f32_e32 v27, v64, v113
	ds_read2_b32 v[31:32], v78 offset0:54 offset1:189
	s_waitcnt vmcnt(7)
	v_mul_f32_e32 v33, v61, v115
	ds_read2_b32 v[29:30], v43 offset0:12 offset1:147
	v_fmac_f32_e32 v102, v64, v112
	v_fma_f32 v97, v41, v112, -v27
	s_waitcnt lgkmcnt(3)
	v_mul_f32_e32 v94, v8, v115
	v_fma_f32 v88, v8, v114, -v33
	s_waitcnt vmcnt(5)
	v_mul_f32_e32 v8, v62, v119
	ds_read2_b32 v[40:41], v72 offset0:70 offset1:205
	v_mul_f32_e32 v27, v59, v117
	v_fmac_f32_e32 v101, v68, v90
	v_fmac_f32_e32 v25, v63, v108
	v_fma_f32 v64, v9, v118, -v8
	v_mul_f32_e32 v8, v60, v121
	v_fmac_f32_e32 v103, v66, v110
	s_waitcnt lgkmcnt(3)
	v_mul_f32_e32 v89, v69, v117
	v_fma_f32 v90, v69, v116, -v27
	v_mul_f32_e32 v66, v70, v121
	v_fma_f32 v69, v70, v120, -v8
	v_mul_f32_e32 v8, v57, v125
	ds_read2_b32 v[108:109], v80 offset0:26 offset1:161
	v_fmac_f32_e32 v94, v61, v114
	v_mul_f32_e32 v68, v9, v119
	v_fmac_f32_e32 v66, v60, v120
	v_mul_f32_e32 v9, v53, v123
	ds_read2_b32 v[60:61], v81 offset0:112 offset1:247
	s_waitcnt lgkmcnt(4)
	v_fma_f32 v91, v31, v124, -v8
	s_waitcnt vmcnt(4)
	v_mul_f32_e32 v8, v54, v127
	v_mul_f32_e32 v27, v58, v129
	v_fmac_f32_e32 v68, v62, v118
	s_waitcnt lgkmcnt(3)
	v_fma_f32 v92, v29, v122, -v9
	v_mul_f32_e32 v87, v32, v129
	v_fma_f32 v70, v30, v126, -v8
	s_waitcnt vmcnt(3) lgkmcnt(2)
	v_mul_f32_e32 v62, v40, v131
	ds_read2_b32 v[8:9], v82 offset0:68 offset1:203
	v_fma_f32 v84, v32, v128, -v27
	v_mul_f32_e32 v27, v55, v131
	v_mul_f32_e32 v93, v29, v123
	v_fmac_f32_e32 v87, v58, v128
	v_fmac_f32_e32 v62, v55, v130
	s_waitcnt vmcnt(2)
	v_mul_f32_e32 v55, v41, v135
	v_fma_f32 v58, v40, v130, -v27
	v_mul_f32_e32 v27, v56, v135
	v_fmac_f32_e32 v21, v67, v86
	v_fmac_f32_e32 v93, v53, v122
	v_mul_f32_e32 v86, v30, v127
	v_mul_f32_e32 v29, v51, v133
	v_fmac_f32_e32 v55, v56, v134
	s_waitcnt vmcnt(1) lgkmcnt(2)
	v_mul_f32_e32 v67, v108, v139
	v_fma_f32 v53, v41, v134, -v27
	v_mul_f32_e32 v27, v49, v139
	s_waitcnt vmcnt(0)
	v_mul_f32_e32 v56, v109, v1
	v_mul_f32_e32 v1, v50, v1
	v_fmac_f32_e32 v89, v59, v116
	v_fmac_f32_e32 v86, v54, v126
	s_waitcnt lgkmcnt(1)
	v_mul_f32_e32 v59, v60, v133
	v_fma_f32 v60, v60, v132, -v29
	v_mul_f32_e32 v54, v61, v137
	v_mul_f32_e32 v29, v52, v137
	v_fmac_f32_e32 v67, v49, v138
	v_fma_f32 v63, v108, v138, -v27
	v_mul_f32_e32 v27, v47, v141
	v_fmac_f32_e32 v56, v50, v0
	v_fma_f32 v49, v109, v0, -v1
	v_add_f32_e32 v0, v21, v24
	v_mul_f32_e32 v100, v31, v125
	v_fmac_f32_e32 v54, v52, v136
	v_fma_f32 v52, v61, v136, -v29
	s_waitcnt lgkmcnt(0)
	v_mul_f32_e32 v85, v8, v141
	v_fma_f32 v65, v8, v140, -v27
	v_add_f32_e32 v8, v45, v20
	v_fma_f32 v0, -0.5, v0, v45
	v_sub_f32_e32 v29, v104, v107
	v_fmac_f32_e32 v100, v57, v124
	v_fmac_f32_e32 v85, v47, v140
	v_mul_f32_e32 v57, v9, v3
	v_mul_f32_e32 v1, v48, v3
	v_sub_f32_e32 v3, v20, v21
	v_sub_f32_e32 v27, v25, v24
	v_mov_b32_e32 v30, 0xc8
	v_mov_b32_e32 v47, 2
	v_add_f32_e32 v8, v8, v21
	v_fmamk_f32 v32, v29, 0xbf737871, v0
	v_sub_f32_e32 v33, v105, v106
	v_fmac_f32_e32 v57, v48, v2
	v_mul_u32_u24_sdwa v17, v17, v30 dst_sel:DWORD dst_unused:UNUSED_PAD src0_sel:WORD_0 src1_sel:DWORD
	v_lshlrev_b32_sdwa v26, v47, v26 dst_sel:DWORD dst_unused:UNUSED_PAD src0_sel:DWORD src1_sel:BYTE_0
	v_add_f32_e32 v3, v3, v27
	v_add_f32_e32 v8, v8, v24
	v_fmac_f32_e32 v32, 0xbf167918, v33
	v_fma_f32 v48, v9, v2, -v1
	v_add_f32_e32 v1, v20, v25
	v_add3_u32 v50, 0, v17, v26
	v_add_f32_e32 v2, v8, v25
	v_fmac_f32_e32 v32, 0x3e9e377a, v3
	v_sub_f32_e32 v8, v21, v20
	v_sub_f32_e32 v9, v24, v25
	v_fma_f32 v1, -0.5, v1, v45
	v_add_f32_e32 v17, v101, v103
	v_add_f32_e32 v40, v99, v102
	ds_read2_b32 v[108:109], v37 offset1:135
	ds_read2_b32 v[30:31], v75 offset0:14 offset1:149
	ds_read2_b32 v[26:27], v79 offset0:28 offset1:163
	v_add_f32_e32 v8, v8, v9
	v_fmamk_f32 v9, v33, 0x3f737871, v1
	s_waitcnt lgkmcnt(0)
	v_fmac_f32_e32 v1, 0xbf737871, v33
	s_barrier
	buffer_gl0_inv
	ds_write2_b32 v50, v2, v32 offset1:10
	v_fma_f32 v2, -0.5, v17, v46
	v_add_f32_e32 v17, v46, v99
	v_fmac_f32_e32 v46, -0.5, v40
	v_sub_f32_e32 v32, v98, v96
	v_fmac_f32_e32 v0, 0x3f737871, v29
	v_fmac_f32_e32 v9, 0xbf167918, v29
	;; [unrolled: 1-line block ×3, first 2 shown]
	v_sub_f32_e32 v29, v101, v99
	v_sub_f32_e32 v40, v103, v102
	v_fmamk_f32 v41, v32, 0x3f737871, v46
	v_sub_f32_e32 v45, v95, v97
	v_fmac_f32_e32 v0, 0x3f167918, v33
	v_fmac_f32_e32 v46, 0xbf737871, v32
	;; [unrolled: 1-line block ×4, first 2 shown]
	v_add_f32_e32 v8, v29, v40
	v_fmac_f32_e32 v41, 0xbf167918, v45
	v_fmac_f32_e32 v0, 0x3e9e377a, v3
	;; [unrolled: 1-line block ×3, first 2 shown]
	v_lshlrev_b32_sdwa v3, v47, v15 dst_sel:DWORD dst_unused:UNUSED_PAD src0_sel:DWORD src1_sel:WORD_0
	v_sub_f32_e32 v15, v99, v101
	v_sub_f32_e32 v29, v102, v103
	v_add_f32_e32 v17, v17, v101
	v_fmamk_f32 v33, v45, 0xbf737871, v2
	v_fmac_f32_e32 v41, 0x3e9e377a, v8
	v_fmac_f32_e32 v46, 0x3e9e377a, v8
	v_add3_u32 v110, 0, v14, v3
	v_add_f32_e32 v3, v15, v29
	v_add_f32_e32 v8, v17, v103
	v_fmac_f32_e32 v33, 0xbf167918, v32
	ds_write2_b32 v50, v9, v1 offset0:20 offset1:30
	ds_write_b32 v50, v0 offset:160
	ds_write2_b32 v110, v41, v46 offset0:20 offset1:30
	v_add_f32_e32 v1, v89, v93
	v_sub_f32_e32 v9, v100, v93
	v_add_f32_e32 v0, v8, v102
	v_fmac_f32_e32 v33, 0x3e9e377a, v3
	v_sub_f32_e32 v8, v94, v89
	v_add_f32_e32 v14, v34, v94
	v_fma_f32 v1, -0.5, v1, v34
	v_sub_f32_e32 v15, v88, v91
	v_fmac_f32_e32 v2, 0x3f737871, v45
	ds_write2_b32 v110, v0, v33 offset1:10
	v_add_f32_e32 v0, v8, v9
	v_add_f32_e32 v8, v14, v89
	v_fmamk_f32 v9, v15, 0xbf737871, v1
	v_sub_f32_e32 v14, v90, v92
	v_fmac_f32_e32 v2, 0x3f167918, v32
	v_lshlrev_b32_sdwa v17, v47, v23 dst_sel:DWORD dst_unused:UNUSED_PAD src0_sel:DWORD src1_sel:WORD_0
	v_add_f32_e32 v8, v8, v93
	v_add_f32_e32 v23, v94, v100
	v_fmac_f32_e32 v9, 0xbf167918, v14
	v_fmac_f32_e32 v2, 0x3e9e377a, v3
	v_add3_u32 v45, 0, v19, v17
	v_add_f32_e32 v3, v8, v100
	v_fma_f32 v8, -0.5, v23, v34
	v_fmac_f32_e32 v9, 0x3e9e377a, v0
	v_sub_f32_e32 v17, v89, v94
	v_sub_f32_e32 v19, v93, v100
	ds_write_b32 v110, v2 offset:160
	v_fmamk_f32 v2, v14, 0x3f737871, v8
	ds_write2_b32 v45, v3, v9 offset1:10
	v_fmac_f32_e32 v8, 0xbf737871, v14
	v_add_f32_e32 v3, v17, v19
	v_add_f32_e32 v9, v66, v86
	;; [unrolled: 1-line block ×3, first 2 shown]
	v_fmac_f32_e32 v1, 0x3f737871, v15
	v_fmac_f32_e32 v2, 0xbf167918, v15
	;; [unrolled: 1-line block ×3, first 2 shown]
	v_fma_f32 v9, -0.5, v9, v35
	v_add_f32_e32 v15, v35, v68
	v_fmac_f32_e32 v35, -0.5, v17
	v_sub_f32_e32 v17, v69, v70
	v_fmac_f32_e32 v1, 0x3f167918, v14
	v_sub_f32_e32 v14, v66, v68
	v_sub_f32_e32 v19, v86, v87
	;; [unrolled: 1-line block ×3, first 2 shown]
	v_fmamk_f32 v23, v17, 0x3f737871, v35
	v_fmac_f32_e32 v35, 0xbf737871, v17
	v_fmac_f32_e32 v2, 0x3e9e377a, v3
	;; [unrolled: 1-line block ×4, first 2 shown]
	v_add_f32_e32 v0, v14, v19
	v_sub_f32_e32 v3, v68, v66
	v_sub_f32_e32 v14, v87, v86
	v_add_f32_e32 v15, v15, v66
	v_fmamk_f32 v19, v29, 0xbf737871, v9
	v_fmac_f32_e32 v59, v51, v132
	v_fmac_f32_e32 v23, 0xbf167918, v29
	;; [unrolled: 1-line block ×3, first 2 shown]
	v_lshlrev_b32_sdwa v13, v47, v13 dst_sel:DWORD dst_unused:UNUSED_PAD src0_sel:DWORD src1_sel:WORD_0
	v_add_f32_e32 v3, v3, v14
	v_add_f32_e32 v14, v15, v86
	v_fmac_f32_e32 v19, 0xbf167918, v17
	v_fmac_f32_e32 v23, 0x3e9e377a, v0
	;; [unrolled: 1-line block ×3, first 2 shown]
	v_add3_u32 v46, 0, v12, v13
	ds_write2_b32 v45, v2, v8 offset0:20 offset1:30
	ds_write_b32 v45, v1 offset:160
	v_add_f32_e32 v1, v59, v67
	v_fmac_f32_e32 v9, 0x3f737871, v29
	v_add_f32_e32 v0, v14, v87
	v_fmac_f32_e32 v19, 0x3e9e377a, v3
	ds_write2_b32 v46, v23, v35 offset0:20 offset1:30
	ds_write2_b32 v46, v0, v19 offset1:10
	v_add_f32_e32 v0, v10, v62
	v_fma_f32 v1, -0.5, v1, v10
	v_sub_f32_e32 v2, v58, v65
	v_fmac_f32_e32 v9, 0x3f167918, v17
	v_sub_f32_e32 v8, v62, v59
	v_sub_f32_e32 v12, v85, v67
	v_add_f32_e32 v0, v0, v59
	v_fmamk_f32 v13, v2, 0xbf737871, v1
	v_sub_f32_e32 v14, v60, v63
	v_add_f32_e32 v17, v62, v85
	v_fmac_f32_e32 v9, 0x3e9e377a, v3
	v_add_f32_e32 v8, v8, v12
	v_lshlrev_b32_sdwa v12, v47, v28 dst_sel:DWORD dst_unused:UNUSED_PAD src0_sel:DWORD src1_sel:WORD_0
	v_mul_u32_u24_e32 v15, 0xc8, v22
	v_add_f32_e32 v0, v0, v67
	v_fmac_f32_e32 v13, 0xbf167918, v14
	v_fma_f32 v3, -0.5, v17, v10
	ds_write_b32 v46, v9 offset:160
	v_sub_f32_e32 v9, v59, v62
	v_sub_f32_e32 v10, v67, v85
	v_add3_u32 v111, 0, v15, v12
	v_add_f32_e32 v0, v0, v85
	v_fmac_f32_e32 v13, 0x3e9e377a, v8
	v_add_f32_e32 v12, v54, v56
	v_add_f32_e32 v9, v9, v10
	;; [unrolled: 1-line block ×3, first 2 shown]
	v_fmac_f32_e32 v1, 0x3f737871, v2
	ds_write2_b32 v111, v0, v13 offset1:10
	v_fmamk_f32 v0, v14, 0x3f737871, v3
	v_fmac_f32_e32 v3, 0xbf737871, v14
	v_fma_f32 v12, -0.5, v12, v11
	v_add_f32_e32 v13, v11, v55
	v_fmac_f32_e32 v11, -0.5, v10
	v_sub_f32_e32 v10, v52, v49
	v_fmac_f32_e32 v0, 0xbf167918, v2
	v_fmac_f32_e32 v3, 0x3f167918, v2
	v_sub_f32_e32 v2, v54, v55
	v_sub_f32_e32 v15, v56, v57
	v_fmamk_f32 v17, v10, 0x3f737871, v11
	v_sub_f32_e32 v19, v53, v48
	v_fmac_f32_e32 v11, 0xbf737871, v10
	v_fmac_f32_e32 v1, 0x3f167918, v14
	;; [unrolled: 1-line block ×4, first 2 shown]
	v_add_f32_e32 v2, v2, v15
	v_fmac_f32_e32 v17, 0xbf167918, v19
	v_fmac_f32_e32 v11, 0x3f167918, v19
	;; [unrolled: 1-line block ×3, first 2 shown]
	ds_write2_b32 v111, v0, v3 offset0:20 offset1:30
	v_add_f32_e32 v0, v13, v54
	v_fmac_f32_e32 v17, 0x3e9e377a, v2
	v_fmac_f32_e32 v11, 0x3e9e377a, v2
	ds_write_b32 v111, v1 offset:160
	v_sub_f32_e32 v1, v55, v54
	v_sub_f32_e32 v2, v57, v56
	v_fmamk_f32 v3, v19, 0xbf737871, v12
	v_fmac_f32_e32 v12, 0x3f737871, v19
	v_lshlrev_b32_sdwa v9, v47, v18 dst_sel:DWORD dst_unused:UNUSED_PAD src0_sel:DWORD src1_sel:WORD_0
	v_mul_u32_u24_e32 v14, 0xc8, v16
	v_add_f32_e32 v0, v0, v56
	v_add_f32_e32 v1, v1, v2
	v_fmac_f32_e32 v3, 0xbf167918, v10
	v_fmac_f32_e32 v12, 0x3f167918, v10
	v_add3_u32 v112, 0, v14, v9
	v_add_f32_e32 v0, v0, v57
	v_add_f32_e32 v2, v105, v106
	v_fmac_f32_e32 v3, 0x3e9e377a, v1
	v_fmac_f32_e32 v12, 0x3e9e377a, v1
	ds_write2_b32 v112, v17, v11 offset0:20 offset1:30
	v_add_f32_e32 v8, v108, v104
	ds_write2_b32 v112, v0, v3 offset1:10
	ds_write_b32 v112, v12 offset:160
	v_add_f32_e32 v12, v104, v107
	v_sub_f32_e32 v113, v20, v25
	v_fma_f32 v114, -0.5, v2, v108
	v_sub_f32_e32 v115, v21, v24
	v_add_f32_e32 v8, v8, v105
	v_fma_f32 v108, -0.5, v12, v108
	v_sub_f32_e32 v2, v104, v105
	v_sub_f32_e32 v9, v107, v106
	v_fmamk_f32 v116, v113, 0x3f737871, v114
	v_sub_f32_e32 v104, v105, v104
	v_sub_f32_e32 v105, v106, v107
	v_add_f32_e32 v1, v8, v106
	v_fmamk_f32 v106, v115, 0xbf737871, v108
	v_fmac_f32_e32 v108, 0x3f737871, v115
	v_add_f32_e32 v117, v2, v9
	v_fmac_f32_e32 v116, 0x3f167918, v115
	v_add_f32_e32 v104, v104, v105
	v_add_f32_e32 v105, v98, v96
	;; [unrolled: 1-line block ×3, first 2 shown]
	v_fmac_f32_e32 v106, 0x3f167918, v113
	v_fmac_f32_e32 v108, 0xbf167918, v113
	v_add_f32_e32 v107, v95, v97
	v_lshl_add_u32 v40, v71, 2, 0
	v_fmac_f32_e32 v116, 0x3e9e377a, v117
	v_sub_f32_e32 v101, v101, v103
	v_fma_f32 v103, -0.5, v105, v109
	v_add_f32_e32 v105, v109, v95
	v_sub_f32_e32 v99, v99, v102
	v_fmac_f32_e32 v106, 0x3e9e377a, v104
	v_fmac_f32_e32 v109, -0.5, v107
	v_fmac_f32_e32 v108, 0x3e9e377a, v104
	v_add_nc_u32_e32 v41, 0xe00, v40
	s_waitcnt lgkmcnt(0)
	s_barrier
	buffer_gl0_inv
	ds_read_b32 v61, v37 offset:3240
	ds_read_b32 v51, v40 offset:4860
	ds_read2_b32 v[10:11], v37 offset1:135
	ds_read2_b32 v[34:35], v72 offset0:70 offset1:205
	ds_read2_b32 v[32:33], v43 offset0:12 offset1:147
	;; [unrolled: 1-line block ×13, first 2 shown]
	s_waitcnt lgkmcnt(0)
	s_barrier
	buffer_gl0_inv
	v_fmac_f32_e32 v114, 0xbf737871, v113
	v_sub_f32_e32 v107, v98, v95
	ds_write2_b32 v50, v118, v116 offset1:10
	ds_write2_b32 v50, v106, v108 offset0:20 offset1:30
	v_add_f32_e32 v105, v105, v98
	v_sub_f32_e32 v95, v95, v98
	v_sub_f32_e32 v98, v97, v96
	v_fmamk_f32 v106, v99, 0x3f737871, v103
	v_fmac_f32_e32 v103, 0xbf737871, v99
	v_sub_f32_e32 v113, v96, v97
	v_fmamk_f32 v102, v101, 0xbf737871, v109
	v_fmac_f32_e32 v109, 0x3f737871, v101
	v_fmac_f32_e32 v114, 0xbf167918, v115
	v_add_f32_e32 v95, v95, v98
	v_fmac_f32_e32 v106, 0x3f167918, v101
	v_fmac_f32_e32 v103, 0xbf167918, v101
	v_add_f32_e32 v104, v107, v113
	v_fmac_f32_e32 v102, 0x3f167918, v99
	v_fmac_f32_e32 v109, 0xbf167918, v99
	v_fmac_f32_e32 v114, 0x3e9e377a, v117
	v_add_f32_e32 v96, v105, v96
	v_fmac_f32_e32 v106, 0x3e9e377a, v95
	v_fmac_f32_e32 v103, 0x3e9e377a, v95
	v_add_f32_e32 v95, v90, v92
	v_fmac_f32_e32 v102, 0x3e9e377a, v104
	v_fmac_f32_e32 v109, 0x3e9e377a, v104
	v_add_f32_e32 v98, v88, v91
	ds_write_b32 v50, v114 offset:160
	ds_write2_b32 v110, v102, v109 offset0:20 offset1:30
	v_add_f32_e32 v50, v96, v97
	v_sub_f32_e32 v94, v94, v100
	v_sub_f32_e32 v96, v88, v90
	;; [unrolled: 1-line block ×3, first 2 shown]
	v_add_f32_e32 v99, v30, v88
	v_fma_f32 v95, -0.5, v95, v30
	v_sub_f32_e32 v89, v89, v93
	v_fma_f32 v30, -0.5, v98, v30
	v_add_f32_e32 v93, v96, v97
	v_add_f32_e32 v96, v99, v90
	v_fmamk_f32 v97, v94, 0x3f737871, v95
	v_sub_f32_e32 v88, v90, v88
	v_sub_f32_e32 v90, v92, v91
	v_fmamk_f32 v98, v89, 0xbf737871, v30
	v_fmac_f32_e32 v30, 0x3f737871, v89
	v_add_f32_e32 v92, v96, v92
	v_fmac_f32_e32 v97, 0x3f167918, v89
	v_add_f32_e32 v88, v88, v90
	v_fmac_f32_e32 v98, 0x3f167918, v94
	v_fmac_f32_e32 v30, 0xbf167918, v94
	;; [unrolled: 1-line block ×3, first 2 shown]
	v_add_f32_e32 v90, v92, v91
	v_fmac_f32_e32 v97, 0x3e9e377a, v93
	v_fmac_f32_e32 v98, 0x3e9e377a, v88
	;; [unrolled: 1-line block ×3, first 2 shown]
	ds_write2_b32 v110, v50, v106 offset1:10
	v_fmac_f32_e32 v95, 0xbf167918, v89
	ds_write_b32 v110, v103 offset:160
	ds_write2_b32 v45, v90, v97 offset1:10
	ds_write2_b32 v45, v98, v30 offset0:20 offset1:30
	v_add_f32_e32 v30, v69, v70
	v_sub_f32_e32 v50, v68, v87
	v_sub_f32_e32 v68, v64, v69
	;; [unrolled: 1-line block ×3, first 2 shown]
	v_add_f32_e32 v88, v64, v84
	v_add_f32_e32 v89, v31, v64
	v_fma_f32 v30, -0.5, v30, v31
	v_sub_f32_e32 v66, v66, v86
	v_add_f32_e32 v68, v68, v87
	v_fmac_f32_e32 v31, -0.5, v88
	v_add_f32_e32 v87, v89, v69
	v_fmamk_f32 v86, v50, 0x3f737871, v30
	v_sub_f32_e32 v64, v69, v64
	v_fmac_f32_e32 v30, 0xbf737871, v50
	v_sub_f32_e32 v69, v70, v84
	v_fmamk_f32 v88, v66, 0xbf737871, v31
	v_fmac_f32_e32 v31, 0x3f737871, v66
	v_add_f32_e32 v70, v87, v70
	v_fmac_f32_e32 v86, 0x3f167918, v66
	v_fmac_f32_e32 v30, 0xbf167918, v66
	v_add_f32_e32 v64, v64, v69
	v_fmac_f32_e32 v88, 0x3f167918, v50
	v_fmac_f32_e32 v31, 0xbf167918, v50
	v_add_f32_e32 v50, v70, v84
	v_add_f32_e32 v66, v60, v63
	v_add_f32_e32 v70, v58, v65
	v_fmac_f32_e32 v86, 0x3e9e377a, v68
	v_fmac_f32_e32 v30, 0x3e9e377a, v68
	;; [unrolled: 1-line block ×4, first 2 shown]
	v_sub_f32_e32 v64, v58, v60
	v_sub_f32_e32 v68, v65, v63
	v_fma_f32 v66, -0.5, v66, v26
	v_add_f32_e32 v69, v26, v58
	v_sub_f32_e32 v59, v59, v67
	v_fma_f32 v26, -0.5, v70, v26
	v_sub_f32_e32 v62, v62, v85
	v_add_f32_e32 v64, v64, v68
	v_add_f32_e32 v68, v69, v60
	v_sub_f32_e32 v58, v60, v58
	v_sub_f32_e32 v60, v63, v65
	v_fmamk_f32 v69, v59, 0xbf737871, v26
	v_fmac_f32_e32 v26, 0x3f737871, v59
	v_fmamk_f32 v67, v62, 0x3f737871, v66
	v_fmac_f32_e32 v66, 0xbf737871, v62
	v_add_f32_e32 v58, v58, v60
	v_fmac_f32_e32 v69, 0x3f167918, v62
	v_fmac_f32_e32 v26, 0xbf167918, v62
	v_add_f32_e32 v60, v27, v53
	v_add_f32_e32 v63, v68, v63
	v_sub_f32_e32 v54, v54, v56
	v_fmac_f32_e32 v69, 0x3e9e377a, v58
	v_fmac_f32_e32 v26, 0x3e9e377a, v58
	v_add_f32_e32 v58, v60, v52
	v_fmac_f32_e32 v67, 0x3f167918, v59
	v_fmac_f32_e32 v66, 0xbf167918, v59
	v_add_f32_e32 v59, v63, v65
	v_sub_f32_e32 v55, v55, v57
	v_add_f32_e32 v56, v58, v49
	v_sub_f32_e32 v57, v53, v52
	;; [unrolled: 2-line block ×5, first 2 shown]
	v_fmac_f32_e32 v95, 0x3e9e377a, v93
	v_fma_f32 v58, -0.5, v60, v27
	v_fmac_f32_e32 v27, -0.5, v63
	v_fmac_f32_e32 v67, 0x3e9e377a, v64
	v_add_f32_e32 v48, v52, v48
	v_mul_lo_u16 v52, v83, 41
	v_fmamk_f32 v56, v55, 0x3f737871, v58
	ds_write_b32 v45, v95 offset:160
	ds_write2_b32 v46, v50, v86 offset1:10
	ds_write2_b32 v46, v88, v31 offset0:20 offset1:30
	ds_write_b32 v46, v30 offset:160
	v_lshrrev_b16 v30, 1, v42
	v_lshrrev_b16 v60, 11, v52
	v_mov_b32_e32 v113, 0x147b
	v_fmamk_f32 v49, v54, 0xbf737871, v27
	v_fmac_f32_e32 v27, 0x3f737871, v54
	v_fmac_f32_e32 v66, 0x3e9e377a, v64
	v_add_f32_e32 v57, v57, v62
	v_fmac_f32_e32 v58, 0xbf737871, v55
	v_fmac_f32_e32 v56, 0x3f167918, v54
	v_mul_lo_u16 v31, v60, 50
	ds_write2_b32 v111, v59, v67 offset1:10
	ds_write2_b32 v111, v69, v26 offset0:20 offset1:30
	ds_write_b32 v111, v66 offset:160
	v_mul_u32_u24_sdwa v26, v30, v113 dst_sel:DWORD dst_unused:UNUSED_PAD src0_sel:WORD_0 src1_sel:DWORD
	v_fmac_f32_e32 v49, 0x3f167918, v55
	v_fmac_f32_e32 v27, 0xbf167918, v55
	;; [unrolled: 1-line block ×4, first 2 shown]
	v_sub_nc_u16 v70, v71, v31
	v_mov_b32_e32 v50, 4
	v_lshrrev_b32_e32 v31, 17, v26
	v_lshrrev_b16 v52, 1, v44
	v_fmac_f32_e32 v49, 0x3e9e377a, v48
	v_fmac_f32_e32 v27, 0x3e9e377a, v48
	;; [unrolled: 1-line block ×3, first 2 shown]
	ds_write2_b32 v112, v53, v56 offset1:10
	ds_write2_b32 v112, v49, v27 offset0:20 offset1:30
	v_lshlrev_b32_sdwa v26, v50, v70 dst_sel:DWORD dst_unused:UNUSED_PAD src0_sel:DWORD src1_sel:BYTE_0
	v_mul_lo_u16 v27, v31, 50
	v_mul_u32_u24_sdwa v30, v52, v113 dst_sel:DWORD dst_unused:UNUSED_PAD src0_sel:WORD_0 src1_sel:DWORD
	ds_write_b32 v112, v58 offset:160
	s_waitcnt lgkmcnt(0)
	s_barrier
	buffer_gl0_inv
	global_load_dwordx4 v[62:65], v26, s[12:13] offset:320
	v_sub_nc_u16 v83, v42, v27
	v_lshrrev_b32_e32 v67, 17, v30
	v_lshrrev_b16 v54, 1, v36
	v_lshrrev_b16 v56, 1, v38
	;; [unrolled: 1-line block ×3, first 2 shown]
	v_lshlrev_b32_sdwa v26, v50, v83 dst_sel:DWORD dst_unused:UNUSED_PAD src0_sel:DWORD src1_sel:WORD_0
	v_mul_lo_u16 v27, v67, 50
	v_mul_u32_u24_sdwa v30, v54, v113 dst_sel:DWORD dst_unused:UNUSED_PAD src0_sel:WORD_0 src1_sel:DWORD
	global_load_dwordx4 v[92:95], v26, s[12:13] offset:320
	v_sub_nc_u16 v86, v44, v27
	v_lshrrev_b32_e32 v84, 17, v30
	v_lshlrev_b32_sdwa v26, v50, v86 dst_sel:DWORD dst_unused:UNUSED_PAD src0_sel:DWORD src1_sel:WORD_0
	v_mul_lo_u16 v27, v84, 50
	global_load_dwordx4 v[96:99], v26, s[12:13] offset:320
	v_sub_nc_u16 v85, v36, v27
	v_mul_u32_u24_sdwa v27, v55, v113 dst_sel:DWORD dst_unused:UNUSED_PAD src0_sel:WORD_0 src1_sel:DWORD
	v_lshlrev_b32_sdwa v26, v50, v85 dst_sel:DWORD dst_unused:UNUSED_PAD src0_sel:DWORD src1_sel:WORD_0
	v_lshrrev_b32_e32 v91, 17, v27
	global_load_dwordx4 v[100:103], v26, s[12:13] offset:320
	v_mul_u32_u24_sdwa v26, v56, v113 dst_sel:DWORD dst_unused:UNUSED_PAD src0_sel:WORD_0 src1_sel:DWORD
	v_mul_lo_u16 v57, v91, 50
	v_lshrrev_b32_e32 v89, 17, v26
	v_mul_lo_u16 v26, v89, 50
	v_sub_nc_u16 v90, v38, v26
	v_lshlrev_b32_sdwa v26, v50, v90 dst_sel:DWORD dst_unused:UNUSED_PAD src0_sel:DWORD src1_sel:WORD_0
	global_load_dwordx4 v[106:109], v26, s[12:13] offset:320
	ds_read2_b32 v[45:46], v72 offset0:70 offset1:205
	ds_read2_b32 v[48:49], v43 offset0:12 offset1:147
	;; [unrolled: 1-line block ×4, first 2 shown]
	s_waitcnt vmcnt(4)
	v_mul_f32_e32 v30, v34, v63
	s_waitcnt lgkmcnt(3)
	v_mul_f32_e32 v26, v45, v63
	s_waitcnt lgkmcnt(2)
	v_mul_f32_e32 v27, v48, v65
	v_mul_f32_e32 v53, v32, v65
	v_fma_f32 v30, v45, v62, -v30
	v_add_nc_u32_e32 v45, 0x32a, v71
	v_fmac_f32_e32 v26, v34, v62
	v_fmac_f32_e32 v27, v32, v64
	v_sub_nc_u16 v34, v39, v57
	v_fma_f32 v32, v48, v64, -v53
	s_waitcnt vmcnt(3)
	v_mul_f32_e32 v63, v46, v93
	v_mul_f32_e32 v48, v35, v93
	v_lshrrev_b16 v57, 1, v45
	v_mul_f32_e32 v64, v49, v95
	v_lshlrev_b32_sdwa v53, v50, v34 dst_sel:DWORD dst_unused:UNUSED_PAD src0_sel:DWORD src1_sel:WORD_0
	v_fmac_f32_e32 v63, v35, v92
	v_fma_f32 v65, v46, v92, -v48
	v_mul_u32_u24_sdwa v35, v57, v113 dst_sel:DWORD dst_unused:UNUSED_PAD src0_sel:WORD_0 src1_sel:DWORD
	v_mul_f32_e32 v46, v33, v95
	v_fmac_f32_e32 v64, v33, v94
	global_load_dwordx4 v[116:119], v53, s[12:13] offset:320
	s_waitcnt vmcnt(3) lgkmcnt(1)
	v_mul_f32_e32 v62, v104, v97
	v_mul_f32_e32 v48, v28, v97
	v_lshrrev_b32_e32 v33, 17, v35
	v_fma_f32 v66, v49, v94, -v46
	v_add_nc_u32_e32 v46, 0x3b1, v71
	v_fmac_f32_e32 v62, v28, v96
	v_fma_f32 v69, v104, v96, -v48
	v_mul_lo_u16 v28, v33, 50
	v_add_nc_u32_e32 v48, 0x438, v71
	v_lshrrev_b16 v58, 1, v46
	v_mul_f32_e32 v35, v24, v99
	s_waitcnt vmcnt(2)
	v_mul_f32_e32 v87, v105, v101
	v_sub_nc_u16 v132, v45, v28
	v_lshrrev_b16 v53, 1, v48
	v_mul_u32_u24_sdwa v28, v58, v113 dst_sel:DWORD dst_unused:UNUSED_PAD src0_sel:WORD_0 src1_sel:DWORD
	s_waitcnt lgkmcnt(0)
	v_fma_f32 v88, v110, v98, -v35
	v_mul_f32_e32 v68, v110, v99
	v_add_nc_u32_e32 v49, 0x4bf, v71
	v_fmac_f32_e32 v87, v29, v100
	v_lshrrev_b32_e32 v35, 17, v28
	v_mul_u32_u24_sdwa v28, v53, v113 dst_sel:DWORD dst_unused:UNUSED_PAD src0_sel:WORD_0 src1_sel:DWORD
	v_fmac_f32_e32 v68, v24, v98
	v_lshlrev_b32_sdwa v24, v50, v132 dst_sel:DWORD dst_unused:UNUSED_PAD src0_sel:DWORD src1_sel:WORD_0
	v_lshrrev_b16 v59, 1, v49
	ds_read2_b32 v[94:95], v74 offset0:40 offset1:175
	v_lshrrev_b32_e32 v133, 17, v28
	v_mul_f32_e32 v28, v29, v101
	global_load_dwordx4 v[96:99], v24, s[12:13] offset:320
	ds_read2_b32 v[92:93], v76 offset0:98 offset1:233
	v_mul_f32_e32 v114, v111, v103
	v_mul_lo_u16 v101, v133, 50
	v_fmac_f32_e32 v114, v25, v102
	v_sub_nc_u16 v136, v48, v101
	v_lshlrev_b32_sdwa v29, v50, v136 dst_sel:DWORD dst_unused:UNUSED_PAD src0_sel:DWORD src1_sel:WORD_0
	s_waitcnt vmcnt(2) lgkmcnt(1)
	v_mul_f32_e32 v104, v94, v109
	global_load_dwordx4 v[124:127], v29, s[12:13] offset:320
	v_mul_lo_u16 v24, v35, 50
	s_waitcnt lgkmcnt(0)
	v_mul_f32_e32 v101, v92, v107
	v_fmac_f32_e32 v104, v22, v108
	v_sub_nc_u16 v134, v46, v24
	v_mul_u32_u24_sdwa v24, v59, v113 dst_sel:DWORD dst_unused:UNUSED_PAD src0_sel:WORD_0 src1_sel:DWORD
	v_fma_f32 v113, v105, v100, -v28
	v_fmac_f32_e32 v101, v20, v106
	v_lshlrev_b32_sdwa v28, v50, v134 dst_sel:DWORD dst_unused:UNUSED_PAD src0_sel:DWORD src1_sel:WORD_0
	v_lshrrev_b32_e32 v135, 17, v24
	v_mul_f32_e32 v24, v25, v103
	v_mul_f32_e32 v25, v22, v109
	global_load_dwordx4 v[120:123], v28, s[12:13] offset:320
	v_mul_lo_u16 v28, v135, 50
	v_fma_f32 v115, v111, v102, -v24
	v_mul_f32_e32 v24, v20, v107
	v_fma_f32 v105, v94, v108, -v25
	v_sub_nc_u16 v137, v49, v28
	v_fma_f32 v107, v92, v106, -v24
	ds_read2_b32 v[24:25], v78 offset0:54 offset1:189
	v_lshlrev_b32_sdwa v28, v50, v137 dst_sel:DWORD dst_unused:UNUSED_PAD src0_sel:DWORD src1_sel:WORD_0
	global_load_dwordx4 v[128:131], v28, s[12:13] offset:320
	s_waitcnt vmcnt(4)
	v_mul_f32_e32 v108, v93, v117
	v_mul_f32_e32 v22, v21, v117
	;; [unrolled: 1-line block ×3, first 2 shown]
	v_fmac_f32_e32 v108, v21, v116
	ds_read2_b32 v[20:21], v81 offset0:112 offset1:247
	v_fma_f32 v111, v93, v116, -v22
	v_mul_f32_e32 v22, v23, v119
	v_fmac_f32_e32 v112, v23, v118
	v_fma_f32 v110, v95, v118, -v22
	ds_read2_b32 v[22:23], v77 offset0:62 offset1:197
	s_waitcnt vmcnt(3)
	v_mul_f32_e32 v28, v18, v97
	v_mul_f32_e32 v29, v16, v99
	s_waitcnt lgkmcnt(1)
	v_mul_f32_e32 v95, v20, v97
	v_mul_f32_e32 v97, v24, v99
	v_fma_f32 v109, v20, v96, -v28
	v_fma_f32 v100, v24, v98, -v29
	ds_read2_b32 v[28:29], v82 offset0:68 offset1:203
	v_fmac_f32_e32 v97, v16, v98
	v_fmac_f32_e32 v95, v18, v96
	s_waitcnt vmcnt(2) lgkmcnt(1)
	v_mul_f32_e32 v92, v22, v125
	v_fmac_f32_e32 v92, v14, v124
	s_waitcnt lgkmcnt(0)
	v_mul_f32_e32 v94, v28, v127
	v_fmac_f32_e32 v94, v12, v126
	s_waitcnt vmcnt(1)
	v_mul_f32_e32 v16, v19, v121
	v_mul_f32_e32 v102, v25, v123
	;; [unrolled: 1-line block ×4, first 2 shown]
	v_fma_f32 v106, v21, v120, -v16
	v_mul_f32_e32 v16, v14, v125
	v_mul_f32_e32 v14, v12, v127
	v_mov_b32_e32 v12, 0x258
	v_fmac_f32_e32 v102, v17, v122
	v_add_f32_e32 v17, v26, v27
	v_fma_f32 v98, v22, v124, -v16
	v_fma_f32 v96, v28, v126, -v14
	v_mul_u32_u24_sdwa v12, v60, v12 dst_sel:DWORD dst_unused:UNUSED_PAD src0_sel:WORD_0 src1_sel:DWORD
	v_fmac_f32_e32 v99, v19, v120
	v_fma_f32 v103, v25, v122, -v18
	s_waitcnt vmcnt(0)
	v_mul_f32_e32 v93, v23, v129
	v_mul_f32_e32 v16, v15, v129
	v_mul_f32_e32 v125, v29, v131
	v_mul_f32_e32 v14, v13, v131
	v_fmac_f32_e32 v93, v15, v128
	v_lshlrev_b32_sdwa v15, v47, v70 dst_sel:DWORD dst_unused:UNUSED_PAD src0_sel:DWORD src1_sel:BYTE_0
	v_fma_f32 v124, v23, v128, -v16
	v_add_f32_e32 v16, v10, v26
	v_fmac_f32_e32 v125, v13, v130
	v_fma_f32 v10, -0.5, v17, v10
	v_sub_f32_e32 v13, v30, v32
	v_add3_u32 v126, 0, v12, v15
	v_add_f32_e32 v15, v63, v64
	v_fma_f32 v70, v29, v130, -v14
	v_add_f32_e32 v12, v16, v27
	v_fmamk_f32 v14, v13, 0xbf5db3d7, v10
	v_fmac_f32_e32 v10, 0x3f5db3d7, v13
	v_add_f32_e32 v13, v11, v63
	v_mul_u32_u24_e32 v16, 0x258, v31
	v_lshlrev_b32_sdwa v17, v47, v83 dst_sel:DWORD dst_unused:UNUSED_PAD src0_sel:DWORD src1_sel:WORD_0
	v_fmac_f32_e32 v11, -0.5, v15
	v_sub_f32_e32 v15, v65, v66
	ds_read_b32 v127, v37 offset:3240
	ds_read_b32 v128, v40 offset:4860
	ds_read2_b32 v[116:117], v37 offset1:135
	ds_read2_b32 v[118:119], v75 offset0:14 offset1:149
	ds_read2_b32 v[120:121], v79 offset0:28 offset1:163
	;; [unrolled: 1-line block ×3, first 2 shown]
	s_waitcnt lgkmcnt(0)
	s_barrier
	buffer_gl0_inv
	ds_write2_b32 v126, v12, v14 offset1:50
	ds_write_b32 v126, v10 offset:400
	v_add_f32_e32 v10, v13, v64
	v_add_f32_e32 v13, v62, v68
	v_add3_u32 v83, 0, v16, v17
	v_fmamk_f32 v12, v15, 0xbf5db3d7, v11
	v_fmac_f32_e32 v11, 0x3f5db3d7, v15
	v_mul_u32_u24_e32 v14, 0x258, v67
	v_lshlrev_b32_sdwa v15, v47, v86 dst_sel:DWORD dst_unused:UNUSED_PAD src0_sel:DWORD src1_sel:WORD_0
	v_add_f32_e32 v16, v8, v62
	v_fma_f32 v8, -0.5, v13, v8
	v_sub_f32_e32 v13, v69, v88
	ds_write2_b32 v83, v10, v12 offset1:50
	ds_write_b32 v83, v11 offset:400
	v_add_f32_e32 v12, v87, v114
	v_add3_u32 v67, 0, v14, v15
	v_add_f32_e32 v10, v16, v68
	v_fmamk_f32 v11, v13, 0xbf5db3d7, v8
	v_fmac_f32_e32 v8, 0x3f5db3d7, v13
	v_add_f32_e32 v13, v9, v87
	v_mul_u32_u24_e32 v14, 0x258, v84
	v_lshlrev_b32_sdwa v15, v47, v85 dst_sel:DWORD dst_unused:UNUSED_PAD src0_sel:DWORD src1_sel:WORD_0
	v_fmac_f32_e32 v9, -0.5, v12
	v_sub_f32_e32 v12, v113, v115
	ds_write2_b32 v67, v10, v11 offset1:50
	ds_write_b32 v67, v8 offset:400
	v_add_f32_e32 v11, v101, v104
	v_add3_u32 v84, 0, v14, v15
	v_add_f32_e32 v8, v13, v114
	v_fmamk_f32 v10, v12, 0xbf5db3d7, v9
	v_fmac_f32_e32 v9, 0x3f5db3d7, v12
	v_mul_u32_u24_e32 v12, 0x258, v89
	v_lshlrev_b32_sdwa v13, v47, v90 dst_sel:DWORD dst_unused:UNUSED_PAD src0_sel:DWORD src1_sel:WORD_0
	v_add_f32_e32 v14, v2, v101
	v_fma_f32 v2, -0.5, v11, v2
	v_sub_f32_e32 v11, v107, v105
	ds_write2_b32 v84, v8, v10 offset1:50
	ds_write_b32 v84, v9 offset:400
	v_add_f32_e32 v10, v108, v112
	v_add3_u32 v85, 0, v12, v13
	v_lshlrev_b32_sdwa v12, v47, v34 dst_sel:DWORD dst_unused:UNUSED_PAD src0_sel:DWORD src1_sel:WORD_0
	v_fmamk_f32 v9, v11, 0xbf5db3d7, v2
	v_fmac_f32_e32 v2, 0x3f5db3d7, v11
	v_mul_u32_u24_e32 v11, 0x258, v91
	v_add_f32_e32 v8, v14, v104
	v_add_f32_e32 v13, v3, v108
	v_fmac_f32_e32 v3, -0.5, v10
	v_add_f32_e32 v10, v95, v97
	ds_write_b32 v85, v2 offset:400
	v_add3_u32 v2, 0, v11, v12
	v_mul_u32_u24_e32 v11, 0x258, v33
	v_lshlrev_b32_sdwa v12, v47, v132 dst_sel:DWORD dst_unused:UNUSED_PAD src0_sel:DWORD src1_sel:WORD_0
	ds_write2_b32 v85, v8, v9 offset1:50
	v_add_f32_e32 v8, v13, v112
	v_sub_f32_e32 v9, v111, v110
	v_add_f32_e32 v13, v61, v95
	v_fmac_f32_e32 v61, -0.5, v10
	v_add_f32_e32 v10, v99, v102
	v_add3_u32 v86, 0, v11, v12
	v_sub_f32_e32 v11, v109, v100
	v_fmamk_f32 v14, v9, 0xbf5db3d7, v3
	v_fmac_f32_e32 v3, 0x3f5db3d7, v9
	v_add_f32_e32 v9, v13, v97
	v_mul_u32_u24_e32 v12, 0x258, v35
	v_lshlrev_b32_sdwa v13, v47, v134 dst_sel:DWORD dst_unused:UNUSED_PAD src0_sel:DWORD src1_sel:WORD_0
	v_add_f32_e32 v15, v0, v99
	v_fma_f32 v0, -0.5, v10, v0
	v_sub_f32_e32 v10, v106, v103
	v_fmamk_f32 v16, v11, 0xbf5db3d7, v61
	v_fmac_f32_e32 v61, 0x3f5db3d7, v11
	v_add3_u32 v89, 0, v12, v13
	v_add_f32_e32 v11, v15, v102
	v_fmamk_f32 v12, v10, 0xbf5db3d7, v0
	ds_write2_b32 v2, v8, v14 offset1:50
	ds_write_b32 v2, v3 offset:400
	ds_write2_b32 v86, v9, v16 offset1:50
	ds_write_b32 v86, v61 offset:400
	ds_write2_b32 v89, v11, v12 offset1:50
	v_add_f32_e32 v3, v92, v94
	v_mul_u32_u24_e32 v8, 0x258, v133
	v_lshlrev_b32_sdwa v9, v47, v136 dst_sel:DWORD dst_unused:UNUSED_PAD src0_sel:DWORD src1_sel:WORD_0
	v_fmac_f32_e32 v0, 0x3f5db3d7, v10
	v_add_f32_e32 v10, v1, v92
	v_fmac_f32_e32 v1, -0.5, v3
	v_sub_f32_e32 v3, v98, v96
	v_add3_u32 v61, 0, v8, v9
	v_add_f32_e32 v8, v93, v125
	ds_write_b32 v89, v0 offset:400
	v_add_f32_e32 v0, v10, v94
	v_fmamk_f32 v9, v3, 0xbf5db3d7, v1
	v_add_f32_e32 v10, v51, v93
	v_mul_u32_u24_e32 v11, 0x258, v135
	v_lshlrev_b32_sdwa v12, v47, v137 dst_sel:DWORD dst_unused:UNUSED_PAD src0_sel:DWORD src1_sel:WORD_0
	v_fmac_f32_e32 v51, -0.5, v8
	v_sub_f32_e32 v8, v124, v70
	v_fmac_f32_e32 v1, 0x3f5db3d7, v3
	ds_write2_b32 v61, v0, v9 offset1:50
	v_add3_u32 v90, 0, v11, v12
	v_add_f32_e32 v0, v10, v125
	v_fmamk_f32 v3, v8, 0xbf5db3d7, v51
	ds_write_b32 v61, v1 offset:400
	v_add_f32_e32 v1, v30, v32
	v_add_f32_e32 v9, v116, v30
	;; [unrolled: 1-line block ×3, first 2 shown]
	ds_write2_b32 v90, v0, v3 offset1:50
	v_sub_f32_e32 v3, v26, v27
	v_fma_f32 v1, -0.5, v1, v116
	v_fmac_f32_e32 v51, 0x3f5db3d7, v8
	v_add_f32_e32 v0, v9, v32
	v_sub_f32_e32 v63, v63, v64
	v_add_f32_e32 v64, v118, v69
	v_fmamk_f32 v91, v3, 0x3f5db3d7, v1
	v_fmac_f32_e32 v1, 0xbf5db3d7, v3
	v_add_f32_e32 v3, v117, v65
	v_fmac_f32_e32 v117, -0.5, v16
	ds_write_b32 v90, v51 offset:400
	s_waitcnt lgkmcnt(0)
	s_barrier
	buffer_gl0_inv
	ds_read_b32 v60, v37 offset:3240
	ds_read_b32 v51, v40 offset:4860
	ds_read2_b32 v[14:15], v37 offset1:135
	ds_read2_b32 v[34:35], v72 offset0:70 offset1:205
	ds_read2_b32 v[32:33], v43 offset0:12 offset1:147
	;; [unrolled: 1-line block ×13, first 2 shown]
	s_waitcnt lgkmcnt(0)
	s_barrier
	buffer_gl0_inv
	ds_write2_b32 v126, v0, v91 offset1:50
	ds_write_b32 v126, v1 offset:400
	v_add_f32_e32 v0, v3, v66
	v_add_f32_e32 v3, v69, v88
	v_fmamk_f32 v1, v63, 0x3f5db3d7, v117
	v_fmac_f32_e32 v117, 0xbf5db3d7, v63
	v_add_f32_e32 v63, v113, v115
	v_sub_f32_e32 v62, v62, v68
	v_fma_f32 v3, -0.5, v3, v118
	v_add_f32_e32 v65, v119, v113
	v_add_f32_e32 v64, v64, v88
	v_fmac_f32_e32 v119, -0.5, v63
	v_sub_f32_e32 v63, v87, v114
	v_fmamk_f32 v66, v62, 0x3f5db3d7, v3
	v_fmac_f32_e32 v3, 0xbf5db3d7, v62
	v_add_f32_e32 v62, v65, v115
	v_fmamk_f32 v65, v63, 0x3f5db3d7, v119
	ds_write2_b32 v83, v0, v1 offset1:50
	ds_write_b32 v83, v117 offset:400
	ds_write2_b32 v67, v64, v66 offset1:50
	ds_write_b32 v67, v3 offset:400
	ds_write2_b32 v84, v62, v65 offset1:50
	v_add_f32_e32 v0, v107, v105
	v_add_f32_e32 v1, v111, v110
	v_sub_f32_e32 v3, v101, v104
	v_add_f32_e32 v62, v120, v107
	v_fmac_f32_e32 v119, 0xbf5db3d7, v63
	v_fma_f32 v0, -0.5, v0, v120
	v_add_f32_e32 v63, v121, v111
	v_fmac_f32_e32 v121, -0.5, v1
	v_sub_f32_e32 v1, v108, v112
	v_add_f32_e32 v62, v62, v105
	v_fmamk_f32 v64, v3, 0x3f5db3d7, v0
	v_fmac_f32_e32 v0, 0xbf5db3d7, v3
	v_add_f32_e32 v3, v63, v110
	v_fmamk_f32 v63, v1, 0x3f5db3d7, v121
	ds_write_b32 v84, v119 offset:400
	ds_write2_b32 v85, v62, v64 offset1:50
	v_add_f32_e32 v62, v109, v100
	v_fmac_f32_e32 v121, 0xbf5db3d7, v1
	v_add_f32_e32 v1, v106, v103
	ds_write_b32 v85, v0 offset:400
	ds_write2_b32 v2, v3, v63 offset1:50
	v_add_f32_e32 v0, v127, v109
	v_fmac_f32_e32 v127, -0.5, v62
	v_sub_f32_e32 v3, v95, v97
	v_add_f32_e32 v62, v122, v106
	v_sub_f32_e32 v63, v99, v102
	v_fma_f32 v1, -0.5, v1, v122
	v_add_f32_e32 v0, v0, v100
	v_fmamk_f32 v64, v3, 0x3f5db3d7, v127
	ds_write_b32 v2, v121 offset:400
	v_fmac_f32_e32 v127, 0xbf5db3d7, v3
	v_add_f32_e32 v2, v62, v103
	v_fmamk_f32 v3, v63, 0x3f5db3d7, v1
	v_fmac_f32_e32 v1, 0xbf5db3d7, v63
	ds_write2_b32 v86, v0, v64 offset1:50
	ds_write_b32 v86, v127 offset:400
	v_add_f32_e32 v0, v98, v96
	ds_write2_b32 v89, v2, v3 offset1:50
	v_add_f32_e32 v2, v123, v98
	ds_write_b32 v89, v1 offset:400
	v_add_f32_e32 v1, v124, v70
	v_fmac_f32_e32 v123, -0.5, v0
	v_sub_f32_e32 v3, v92, v94
	v_add_f32_e32 v62, v2, v96
	v_add_f32_e32 v2, v128, v124
	v_fmac_f32_e32 v128, -0.5, v1
	v_mov_b32_e32 v1, 0
	v_lshlrev_b32_e32 v0, 1, v71
	v_fmamk_f32 v64, v3, 0x3f5db3d7, v123
	v_fmac_f32_e32 v123, 0xbf5db3d7, v3
	v_add_f32_e32 v65, v2, v70
	v_sub_f32_e32 v63, v93, v125
	v_lshlrev_b64 v[2:3], 3, v[0:1]
	ds_write2_b32 v61, v62, v64 offset1:50
	ds_write_b32 v61, v123 offset:400
	v_add_nc_u32_e32 v61, -15, v71
	v_mov_b32_e32 v70, 0xda75
	v_fmamk_f32 v66, v63, 0x3f5db3d7, v128
	v_fmac_f32_e32 v128, 0xbf5db3d7, v63
	v_add_co_u32 v2, s0, s12, v2
	v_add_co_ci_u32_e64 v3, s0, s13, v3, s0
	ds_write2_b32 v90, v65, v66 offset1:50
	ds_write_b32 v90, v128 offset:400
	s_waitcnt lgkmcnt(0)
	s_barrier
	buffer_gl0_inv
	global_load_dwordx4 v[66:69], v[2:3], off offset:1120
	v_cmp_gt_u32_e64 s0, 15, v71
	v_mov_b32_e32 v63, v1
	v_mul_u32_u24_sdwa v52, v52, v70 dst_sel:DWORD dst_unused:UNUSED_PAD src0_sel:WORD_0 src1_sel:DWORD
	v_mul_u32_u24_sdwa v56, v56, v70 dst_sel:DWORD dst_unused:UNUSED_PAD src0_sel:WORD_0 src1_sel:DWORD
	;; [unrolled: 1-line block ×3, first 2 shown]
	v_cndmask_b32_e64 v61, v61, v42, s0
	v_mul_u32_u24_sdwa v55, v55, v70 dst_sel:DWORD dst_unused:UNUSED_PAD src0_sel:WORD_0 src1_sel:DWORD
	v_lshrrev_b32_e32 v52, 22, v52
	v_lshrrev_b32_e32 v56, 22, v56
	v_lshrrev_b32_e32 v54, 22, v54
	v_lshlrev_b32_e32 v62, 1, v61
	v_mul_u32_u24_sdwa v57, v57, v70 dst_sel:DWORD dst_unused:UNUSED_PAD src0_sel:WORD_0 src1_sel:DWORD
	v_mul_u32_u24_sdwa v53, v53, v70 dst_sel:DWORD dst_unused:UNUSED_PAD src0_sel:WORD_0 src1_sel:DWORD
	v_mul_lo_u16 v65, 0x96, v56
	v_lshlrev_b64 v[62:63], 3, v[62:63]
	v_lshrrev_b32_e32 v97, 22, v57
	v_lshrrev_b32_e32 v53, 22, v53
	v_sub_nc_u16 v65, v38, v65
	v_add_co_u32 v62, s0, s12, v62
	v_add_co_ci_u32_e64 v63, s0, s13, v63, s0
	v_lshlrev_b32_sdwa v95, v50, v65 dst_sel:DWORD dst_unused:UNUSED_PAD src0_sel:DWORD src1_sel:WORD_0
	v_mul_lo_u16 v108, 0x96, v97
	v_cmp_lt_u32_e64 s0, 14, v71
	global_load_dwordx4 v[83:86], v[62:63], off offset:1120
	v_mul_lo_u16 v62, 0x96, v52
	global_load_dwordx4 v[100:103], v95, s[12:13] offset:1120
	v_sub_nc_u16 v125, v45, v108
	v_sub_nc_u16 v63, v44, v62
	v_mul_lo_u16 v62, 0x96, v54
	v_lshlrev_b32_sdwa v64, v50, v63 dst_sel:DWORD dst_unused:UNUSED_PAD src0_sel:DWORD src1_sel:WORD_0
	v_sub_nc_u16 v62, v36, v62
	global_load_dwordx4 v[87:90], v64, s[12:13] offset:1120
	v_lshlrev_b32_sdwa v64, v50, v62 dst_sel:DWORD dst_unused:UNUSED_PAD src0_sel:DWORD src1_sel:WORD_0
	global_load_dwordx4 v[91:94], v64, s[12:13] offset:1120
	v_lshrrev_b32_e32 v64, 22, v55
	v_mul_lo_u16 v55, 0x96, v64
	v_sub_nc_u16 v98, v39, v55
	v_mul_u32_u24_sdwa v55, v58, v70 dst_sel:DWORD dst_unused:UNUSED_PAD src0_sel:WORD_0 src1_sel:DWORD
	ds_read2_b32 v[57:58], v72 offset0:70 offset1:205
	ds_read2_b32 v[95:96], v43 offset0:12 offset1:147
	v_lshlrev_b32_sdwa v99, v50, v98 dst_sel:DWORD dst_unused:UNUSED_PAD src0_sel:DWORD src1_sel:WORD_0
	v_lshrrev_b32_e32 v124, 22, v55
	v_mul_u32_u24_sdwa v55, v59, v70 dst_sel:DWORD dst_unused:UNUSED_PAD src0_sel:WORD_0 src1_sel:DWORD
	v_lshlrev_b32_sdwa v70, v50, v125 dst_sel:DWORD dst_unused:UNUSED_PAD src0_sel:DWORD src1_sel:WORD_0
	global_load_dwordx4 v[104:107], v99, s[12:13] offset:1120
	v_mul_lo_u16 v59, 0x96, v124
	v_lshrrev_b32_e32 v55, 22, v55
	global_load_dwordx4 v[108:111], v70, s[12:13] offset:1120
	v_sub_nc_u16 v126, v46, v59
	v_mul_lo_u16 v55, 0x96, v55
	v_mul_lo_u16 v59, 0x96, v53
	v_lshlrev_b32_sdwa v70, v50, v126 dst_sel:DWORD dst_unused:UNUSED_PAD src0_sel:DWORD src1_sel:WORD_0
	v_sub_nc_u16 v55, v49, v55
	v_sub_nc_u16 v127, v48, v59
	global_load_dwordx4 v[112:115], v70, s[12:13] offset:1120
	v_and_b32_e32 v129, 0xffff, v55
	v_lshlrev_b32_sdwa v55, v50, v127 dst_sel:DWORD dst_unused:UNUSED_PAD src0_sel:DWORD src1_sel:WORD_0
	global_load_dwordx4 v[116:119], v55, s[12:13] offset:1120
	s_waitcnt vmcnt(8) lgkmcnt(1)
	v_mul_f32_e32 v128, v57, v67
	v_mul_f32_e32 v59, v34, v67
	s_waitcnt lgkmcnt(0)
	v_mul_f32_e32 v130, v95, v69
	v_mul_f32_e32 v67, v32, v69
	v_fmac_f32_e32 v128, v34, v66
	v_lshlrev_b32_e32 v34, 4, v129
	v_fmac_f32_e32 v130, v32, v68
	v_fma_f32 v131, v57, v66, -v59
	v_fma_f32 v132, v95, v68, -v67
	ds_read2_b32 v[66:67], v74 offset0:40 offset1:175
	global_load_dwordx4 v[120:123], v34, s[12:13] offset:1120
	s_waitcnt vmcnt(8)
	v_mul_f32_e32 v133, v58, v84
	v_mul_f32_e32 v32, v35, v84
	;; [unrolled: 1-line block ×3, first 2 shown]
	s_waitcnt vmcnt(7) lgkmcnt(0)
	v_mul_f32_e32 v99, v66, v103
	v_fmac_f32_e32 v133, v35, v83
	ds_read2_b32 v[34:35], v73 offset0:84 offset1:219
	v_fma_f32 v134, v58, v83, -v32
	ds_read2_b32 v[57:58], v80 offset0:26 offset1:161
	v_mul_f32_e32 v32, v33, v86
	v_fmac_f32_e32 v135, v33, v85
	v_fmac_f32_e32 v99, v24, v102
	v_fma_f32 v137, v96, v85, -v32
	ds_read2_b32 v[32:33], v76 offset0:98 offset1:233
	s_waitcnt vmcnt(6)
	v_mul_f32_e32 v55, v30, v88
	v_mul_f32_e32 v59, v28, v90
	s_waitcnt lgkmcnt(2)
	v_mul_f32_e32 v136, v34, v88
	s_waitcnt vmcnt(5)
	v_mul_f32_e32 v141, v35, v92
	s_waitcnt lgkmcnt(1)
	v_mul_f32_e32 v138, v57, v90
	v_mul_f32_e32 v142, v58, v94
	v_fma_f32 v139, v34, v87, -v55
	v_fmac_f32_e32 v136, v30, v87
	v_mul_f32_e32 v30, v29, v94
	v_fmac_f32_e32 v138, v28, v89
	v_fmac_f32_e32 v141, v31, v91
	v_mul_f32_e32 v28, v31, v92
	s_waitcnt lgkmcnt(0)
	v_mul_f32_e32 v94, v32, v101
	v_fma_f32 v144, v58, v93, -v30
	ds_read2_b32 v[30:31], v78 offset0:54 offset1:189
	v_fma_f32 v140, v57, v89, -v59
	v_fma_f32 v143, v35, v91, -v28
	v_fmac_f32_e32 v142, v29, v93
	ds_read2_b32 v[28:29], v81 offset0:112 offset1:247
	v_mul_f32_e32 v34, v26, v101
	v_fmac_f32_e32 v94, v26, v100
	s_waitcnt vmcnt(4)
	v_mul_f32_e32 v87, v33, v105
	v_mul_f32_e32 v26, v27, v105
	v_mul_f32_e32 v89, v67, v107
	v_mul_f32_e32 v35, v24, v103
	v_fma_f32 v145, v32, v100, -v34
	v_fmac_f32_e32 v87, v27, v104
	v_fma_f32 v96, v33, v104, -v26
	v_mul_f32_e32 v32, v25, v107
	ds_read2_b32 v[26:27], v77 offset0:62 offset1:197
	v_fmac_f32_e32 v89, v25, v106
	ds_read2_b32 v[24:25], v82 offset0:68 offset1:203
	s_waitcnt vmcnt(3)
	v_mul_f32_e32 v33, v22, v109
	v_fma_f32 v91, v67, v106, -v32
	s_waitcnt lgkmcnt(3)
	v_mul_f32_e32 v85, v30, v111
	v_mul_f32_e32 v32, v20, v111
	s_waitcnt vmcnt(2)
	v_mul_f32_e32 v69, v31, v115
	v_fma_f32 v95, v66, v102, -v35
	s_waitcnt lgkmcnt(2)
	v_mul_f32_e32 v84, v28, v109
	v_fmac_f32_e32 v85, v20, v110
	v_mul_f32_e32 v20, v23, v113
	v_fmac_f32_e32 v69, v21, v114
	v_fma_f32 v92, v28, v108, -v33
	v_fmac_f32_e32 v84, v22, v108
	v_mul_f32_e32 v22, v21, v115
	v_fma_f32 v86, v29, v112, -v20
	s_waitcnt vmcnt(1)
	v_mul_f32_e32 v20, v18, v117
	v_mul_f32_e32 v21, v16, v119
	ds_read_b32 v108, v37 offset:3240
	ds_read_b32 v55, v40 offset:4860
	ds_read2_b32 v[100:101], v37 offset1:135
	ds_read2_b32 v[102:103], v75 offset0:14 offset1:149
	ds_read2_b32 v[104:105], v79 offset0:28 offset1:163
	s_waitcnt lgkmcnt(6)
	v_mul_f32_e32 v57, v26, v117
	ds_read2_b32 v[106:107], v41 offset0:49 offset1:184
	s_waitcnt lgkmcnt(6)
	v_mul_f32_e32 v59, v24, v119
	v_fma_f32 v68, v26, v116, -v20
	v_add_f32_e32 v20, v128, v130
	v_fmac_f32_e32 v57, v18, v116
	v_fma_f32 v66, v24, v118, -v21
	v_fmac_f32_e32 v59, v16, v118
	s_waitcnt vmcnt(0) lgkmcnt(0)
	s_barrier
	buffer_gl0_inv
	v_cndmask_b32_e64 v21, 0, 0x708, s0
	v_mul_f32_e32 v67, v29, v113
	v_fma_f32 v83, v31, v114, -v22
	v_fma_f32 v93, v30, v110, -v32
	v_sub_f32_e32 v110, v128, v130
	v_fmac_f32_e32 v67, v23, v112
	v_add_f32_e32 v112, v101, v134
	v_mul_f32_e32 v58, v27, v121
	v_mul_f32_e32 v70, v25, v123
	v_mul_f32_e32 v16, v19, v121
	v_mul_f32_e32 v18, v17, v123
	v_fmac_f32_e32 v58, v19, v120
	v_add_f32_e32 v19, v14, v128
	v_fmac_f32_e32 v70, v17, v122
	v_fma_f32 v14, -0.5, v20, v14
	v_sub_f32_e32 v17, v131, v132
	v_fma_f32 v90, v27, v120, -v16
	v_fma_f32 v88, v25, v122, -v18
	v_add_f32_e32 v16, v19, v130
	v_add_f32_e32 v19, v15, v133
	v_fmamk_f32 v18, v17, 0xbf5db3d7, v14
	v_fmac_f32_e32 v14, 0x3f5db3d7, v17
	v_add_f32_e32 v17, v133, v135
	v_lshlrev_b32_e32 v20, 2, v61
	ds_write2_b32 v37, v16, v18 offset1:150
	ds_write_b32 v37, v14 offset:1200
	v_add_f32_e32 v18, v136, v138
	v_fmac_f32_e32 v15, -0.5, v17
	v_sub_f32_e32 v17, v134, v137
	v_add3_u32 v61, 0, v21, v20
	v_add_f32_e32 v14, v19, v135
	v_lshlrev_b32_sdwa v19, v47, v63 dst_sel:DWORD dst_unused:UNUSED_PAD src0_sel:DWORD src1_sel:WORD_0
	v_add_f32_e32 v20, v12, v136
	v_fmamk_f32 v16, v17, 0xbf5db3d7, v15
	v_fmac_f32_e32 v15, 0x3f5db3d7, v17
	v_mul_u32_u24_e32 v17, 0x708, v52
	v_fma_f32 v12, -0.5, v18, v12
	v_sub_f32_e32 v18, v139, v140
	ds_write2_b32 v61, v14, v16 offset1:150
	ds_write_b32 v61, v15 offset:1200
	v_add_f32_e32 v14, v20, v138
	v_add3_u32 v52, 0, v17, v19
	v_add_f32_e32 v16, v141, v142
	v_fmamk_f32 v15, v18, 0xbf5db3d7, v12
	v_fmac_f32_e32 v12, 0x3f5db3d7, v18
	v_add_f32_e32 v17, v13, v141
	v_mul_u32_u24_e32 v18, 0x708, v54
	v_lshlrev_b32_sdwa v19, v47, v62 dst_sel:DWORD dst_unused:UNUSED_PAD src0_sel:DWORD src1_sel:WORD_0
	v_fmac_f32_e32 v13, -0.5, v16
	v_sub_f32_e32 v16, v143, v144
	ds_write2_b32 v52, v14, v15 offset1:150
	ds_write_b32 v52, v12 offset:1200
	v_add_f32_e32 v15, v94, v99
	v_add3_u32 v62, 0, v18, v19
	v_add_f32_e32 v12, v17, v142
	v_fmamk_f32 v14, v16, 0xbf5db3d7, v13
	v_fmac_f32_e32 v13, 0x3f5db3d7, v16
	v_mul_u32_u24_e32 v16, 0x708, v56
	v_lshlrev_b32_sdwa v17, v47, v65 dst_sel:DWORD dst_unused:UNUSED_PAD src0_sel:DWORD src1_sel:WORD_0
	v_add_f32_e32 v18, v10, v94
	v_fma_f32 v10, -0.5, v15, v10
	v_sub_f32_e32 v15, v145, v95
	ds_write2_b32 v62, v12, v14 offset1:150
	ds_write_b32 v62, v13 offset:1200
	v_add3_u32 v56, 0, v16, v17
	v_add_f32_e32 v12, v18, v99
	v_add_f32_e32 v14, v87, v89
	v_fmamk_f32 v13, v15, 0xbf5db3d7, v10
	v_fmac_f32_e32 v10, 0x3f5db3d7, v15
	v_mul_u32_u24_e32 v15, 0x708, v64
	v_lshlrev_b32_sdwa v16, v47, v98 dst_sel:DWORD dst_unused:UNUSED_PAD src0_sel:DWORD src1_sel:WORD_0
	v_lshlrev_b32_sdwa v18, v47, v126 dst_sel:DWORD dst_unused:UNUSED_PAD src0_sel:DWORD src1_sel:WORD_0
	ds_write2_b32 v56, v12, v13 offset1:150
	v_add_f32_e32 v12, v11, v87
	v_fmac_f32_e32 v11, -0.5, v14
	ds_write_b32 v56, v10 offset:1200
	v_sub_f32_e32 v10, v96, v91
	v_add3_u32 v63, 0, v15, v16
	v_mul_u32_u24_e32 v15, 0x708, v97
	v_lshlrev_b32_sdwa v16, v47, v125 dst_sel:DWORD dst_unused:UNUSED_PAD src0_sel:DWORD src1_sel:WORD_0
	v_add_f32_e32 v13, v84, v85
	v_fmamk_f32 v17, v10, 0xbf5db3d7, v11
	v_fmac_f32_e32 v11, 0x3f5db3d7, v10
	v_add_f32_e32 v10, v67, v69
	v_add3_u32 v64, 0, v15, v16
	v_mul_u32_u24_e32 v16, 0x708, v124
	v_add_f32_e32 v19, v8, v67
	v_add_f32_e32 v14, v60, v84
	v_fma_f32 v8, -0.5, v10, v8
	v_sub_f32_e32 v10, v86, v83
	v_fmac_f32_e32 v60, -0.5, v13
	v_sub_f32_e32 v13, v92, v93
	v_add_f32_e32 v12, v12, v89
	v_add3_u32 v65, 0, v16, v18
	v_fmamk_f32 v16, v10, 0xbf5db3d7, v8
	v_fmac_f32_e32 v8, 0x3f5db3d7, v10
	v_fmamk_f32 v15, v13, 0xbf5db3d7, v60
	v_fmac_f32_e32 v60, 0x3f5db3d7, v13
	v_add_f32_e32 v13, v14, v85
	v_add_f32_e32 v14, v19, v69
	ds_write2_b32 v63, v12, v17 offset1:150
	ds_write_b32 v63, v11 offset:1200
	ds_write2_b32 v64, v13, v15 offset1:150
	ds_write_b32 v64, v60 offset:1200
	ds_write2_b32 v65, v14, v16 offset1:150
	v_add_f32_e32 v11, v57, v59
	v_mul_u32_u24_e32 v12, 0x708, v53
	v_lshlrev_b32_sdwa v13, v47, v127 dst_sel:DWORD dst_unused:UNUSED_PAD src0_sel:DWORD src1_sel:WORD_0
	ds_write_b32 v65, v8 offset:1200
	v_add_f32_e32 v8, v58, v70
	v_add_f32_e32 v10, v9, v57
	v_fmac_f32_e32 v9, -0.5, v11
	v_sub_f32_e32 v11, v68, v66
	v_add3_u32 v60, 0, v12, v13
	v_add_f32_e32 v13, v51, v58
	v_fmac_f32_e32 v51, -0.5, v8
	v_sub_f32_e32 v8, v90, v88
	v_add_f32_e32 v10, v10, v59
	v_fmamk_f32 v12, v11, 0xbf5db3d7, v9
	v_lshl_add_u32 v97, v129, 2, 0
	v_fmac_f32_e32 v9, 0x3f5db3d7, v11
	v_fmamk_f32 v11, v8, 0xbf5db3d7, v51
	v_fmac_f32_e32 v51, 0x3f5db3d7, v8
	v_add_f32_e32 v8, v131, v132
	ds_write2_b32 v60, v10, v12 offset1:150
	ds_write_b32 v60, v9 offset:1200
	v_add_f32_e32 v12, v100, v131
	ds_write_b32 v97, v51 offset:15600
	v_fma_f32 v51, -0.5, v8, v100
	v_add_f32_e32 v100, v134, v137
	v_add_f32_e32 v10, v13, v70
	v_add_nc_u32_e32 v98, 0x3800, v97
	v_add_f32_e32 v109, v12, v132
	v_fmamk_f32 v111, v110, 0x3f5db3d7, v51
	v_fmac_f32_e32 v51, 0xbf5db3d7, v110
	v_fmac_f32_e32 v101, -0.5, v100
	v_sub_f32_e32 v100, v133, v135
	ds_write2_b32 v98, v10, v11 offset0:16 offset1:166
	s_waitcnt lgkmcnt(0)
	s_barrier
	buffer_gl0_inv
	ds_read_b32 v54, v37 offset:3240
	ds_read_b32 v53, v40 offset:4860
	ds_read2_b32 v[14:15], v37 offset1:135
	ds_read2_b32 v[34:35], v72 offset0:70 offset1:205
	ds_read2_b32 v[32:33], v43 offset0:12 offset1:147
	;; [unrolled: 1-line block ×13, first 2 shown]
	s_waitcnt lgkmcnt(0)
	s_barrier
	buffer_gl0_inv
	ds_write_b32 v37, v51 offset:1200
	v_add_f32_e32 v51, v139, v140
	ds_write2_b32 v37, v109, v111 offset1:150
	v_add_f32_e32 v109, v112, v137
	v_fmamk_f32 v110, v100, 0x3f5db3d7, v101
	v_fmac_f32_e32 v101, 0xbf5db3d7, v100
	v_add_f32_e32 v100, v102, v139
	v_sub_f32_e32 v111, v136, v138
	v_fma_f32 v51, -0.5, v51, v102
	ds_write2_b32 v61, v109, v110 offset1:150
	ds_write_b32 v61, v101 offset:1200
	v_add_f32_e32 v61, v143, v144
	v_add_f32_e32 v100, v100, v140
	;; [unrolled: 1-line block ×3, first 2 shown]
	v_fmamk_f32 v101, v111, 0x3f5db3d7, v51
	v_fmac_f32_e32 v51, 0xbf5db3d7, v111
	v_fmac_f32_e32 v103, -0.5, v61
	v_sub_f32_e32 v61, v141, v142
	ds_write2_b32 v52, v100, v101 offset1:150
	ds_write_b32 v52, v51 offset:1200
	v_add_f32_e32 v52, v145, v95
	v_add_f32_e32 v51, v102, v144
	v_fmamk_f32 v100, v61, 0x3f5db3d7, v103
	v_fmac_f32_e32 v103, 0xbf5db3d7, v61
	v_sub_f32_e32 v61, v94, v99
	v_add_f32_e32 v94, v104, v145
	v_fma_f32 v52, -0.5, v52, v104
	ds_write2_b32 v62, v51, v100 offset1:150
	ds_write_b32 v62, v103 offset:1200
	v_add_f32_e32 v51, v96, v91
	v_sub_f32_e32 v58, v58, v70
	v_add_f32_e32 v62, v94, v95
	v_fmamk_f32 v94, v61, 0x3f5db3d7, v52
	v_fmac_f32_e32 v52, 0xbf5db3d7, v61
	v_add_f32_e32 v61, v105, v96
	v_fmac_f32_e32 v105, -0.5, v51
	v_sub_f32_e32 v51, v87, v89
	ds_write2_b32 v56, v62, v94 offset1:150
	ds_write_b32 v56, v52 offset:1200
	v_add_f32_e32 v52, v92, v93
	v_add_f32_e32 v56, v61, v91
	v_sub_f32_e32 v62, v67, v69
	v_fmamk_f32 v61, v51, 0x3f5db3d7, v105
	v_fmac_f32_e32 v105, 0xbf5db3d7, v51
	v_add_f32_e32 v51, v108, v92
	v_fmac_f32_e32 v108, -0.5, v52
	v_sub_f32_e32 v52, v84, v85
	ds_write2_b32 v63, v56, v61 offset1:150
	ds_write_b32 v63, v105 offset:1200
	v_add_f32_e32 v56, v86, v83
	v_add_f32_e32 v51, v51, v93
	;; [unrolled: 1-line block ×3, first 2 shown]
	v_fmamk_f32 v61, v52, 0x3f5db3d7, v108
	v_fmac_f32_e32 v108, 0xbf5db3d7, v52
	v_add_f32_e32 v52, v106, v86
	v_fma_f32 v56, -0.5, v56, v106
	ds_write2_b32 v64, v51, v61 offset1:150
	ds_write_b32 v64, v108 offset:1200
	v_mov_b32_e32 v64, v1
	v_add_f32_e32 v51, v52, v83
	v_add_f32_e32 v52, v68, v66
	v_fmamk_f32 v61, v62, 0x3f5db3d7, v56
	v_fmac_f32_e32 v56, 0xbf5db3d7, v62
	v_add_f32_e32 v62, v90, v88
	v_add_nc_u32_e32 v67, 0xb4, v0
	v_fmac_f32_e32 v107, -0.5, v52
	v_sub_f32_e32 v52, v57, v59
	v_add_f32_e32 v57, v55, v90
	v_fmac_f32_e32 v55, -0.5, v62
	v_add_f32_e32 v59, v63, v66
	v_mov_b32_e32 v68, v1
	v_fmamk_f32 v62, v52, 0x3f5db3d7, v107
	v_fmac_f32_e32 v107, 0xbf5db3d7, v52
	v_add_f32_e32 v52, v57, v88
	v_fmamk_f32 v57, v58, 0x3f5db3d7, v55
	ds_write2_b32 v65, v51, v61 offset1:150
	ds_write_b32 v65, v56 offset:1200
	ds_write2_b32 v60, v59, v62 offset1:150
	ds_write_b32 v60, v107 offset:1200
	ds_write2_b32 v98, v52, v57 offset0:16 offset1:166
	v_lshlrev_b32_e32 v51, 1, v42
	v_mov_b32_e32 v52, v1
	v_add_co_u32 v56, s0, 0x800, v2
	v_add_co_ci_u32_e64 v57, s0, 0, v3, s0
	v_lshlrev_b64 v[51:52], 3, v[51:52]
	v_fmac_f32_e32 v55, 0xbf5db3d7, v58
	v_subrev_nc_u32_e32 v42, 45, v71
	v_lshlrev_b32_e32 v58, 1, v44
	v_mov_b32_e32 v59, v1
	v_mov_b32_e32 v89, 0x91a3
	v_add_co_u32 v51, s0, s12, v51
	v_add_co_ci_u32_e64 v52, s0, s13, v52, s0
	v_cmp_gt_u32_e64 s0, 45, v71
	ds_write_b32 v97, v55 offset:15600
	v_lshlrev_b64 v[58:59], 3, v[58:59]
	v_lshlrev_b64 v[87:88], 3, v[67:68]
	s_waitcnt lgkmcnt(0)
	v_cndmask_b32_e64 v55, v42, v36, s0
	v_add_co_u32 v61, s0, 0x800, v51
	v_add_co_ci_u32_e64 v62, s0, 0, v52, s0
	v_lshlrev_b32_e32 v63, 1, v55
	v_add_co_u32 v42, s0, s12, v58
	v_add_co_ci_u32_e64 v44, s0, s13, v59, s0
	v_lshlrev_b64 v[58:59], 3, v[63:64]
	v_add_co_u32 v65, s0, 0x800, v42
	v_add_co_ci_u32_e64 v66, s0, 0, v44, s0
	s_barrier
	v_add_co_u32 v58, s0, s12, v58
	v_add_co_ci_u32_e64 v59, s0, s13, v59, s0
	buffer_gl0_inv
	v_add_co_u32 v69, s0, 0x800, v58
	v_add_co_ci_u32_e64 v70, s0, 0, v59, s0
	s_clause 0x1
	global_load_dwordx4 v[57:60], v[56:57], off offset:1472
	global_load_dwordx4 v[61:64], v[61:62], off offset:1472
	v_add_nc_u32_e32 v0, 0x1c2, v0
	v_mul_u32_u24_sdwa v56, v45, v89 dst_sel:DWORD dst_unused:UNUSED_PAD src0_sel:WORD_0 src1_sel:DWORD
	s_clause 0x1
	global_load_dwordx4 v[65:68], v[65:66], off offset:1472
	global_load_dwordx4 v[83:86], v[69:70], off offset:1472
	v_add_co_u32 v87, s0, s12, v87
	v_lshlrev_b64 v[69:70], 3, v[0:1]
	v_lshrrev_b32_e32 v0, 24, v56
	v_add_co_ci_u32_e64 v88, s0, s13, v88, s0
	v_mul_u32_u24_sdwa v56, v46, v89 dst_sel:DWORD dst_unused:UNUSED_PAD src0_sel:WORD_0 src1_sel:DWORD
	v_add_co_u32 v87, s0, 0x800, v87
	v_mul_lo_u16 v90, 0x1c2, v0
	v_add_co_ci_u32_e64 v88, s0, 0, v88, s0
	v_lshrrev_b32_e32 v91, 24, v56
	v_add_co_u32 v69, s0, s12, v69
	v_add_co_ci_u32_e64 v70, s0, s13, v70, s0
	v_sub_nc_u16 v56, v45, v90
	v_mul_lo_u16 v90, 0x1c2, v91
	v_add_co_u32 v69, s0, 0x800, v69
	v_mul_u32_u24_sdwa v91, v48, v89 dst_sel:DWORD dst_unused:UNUSED_PAD src0_sel:WORD_0 src1_sel:DWORD
	v_add_co_ci_u32_e64 v70, s0, 0, v70, s0
	v_lshlrev_b32_sdwa v92, v50, v56 dst_sel:DWORD dst_unused:UNUSED_PAD src0_sel:DWORD src1_sel:WORD_0
	v_sub_nc_u16 v90, v46, v90
	s_clause 0x1
	global_load_dwordx4 v[103:106], v[87:88], off offset:1472
	global_load_dwordx4 v[107:110], v[69:70], off offset:1472
	v_lshrrev_b32_e32 v69, 24, v91
	v_mul_u32_u24_sdwa v89, v49, v89 dst_sel:DWORD dst_unused:UNUSED_PAD src0_sel:WORD_0 src1_sel:DWORD
	v_add_co_u32 v70, s0, s12, v92
	v_and_b32_e32 v50, 0xffff, v90
	v_add_co_ci_u32_e64 v87, null, s13, 0, s0
	v_mul_lo_u16 v90, 0x1c2, v69
	v_add_co_u32 v69, s0, 0x800, v70
	v_lshlrev_b32_e32 v88, 4, v50
	v_add_co_ci_u32_e64 v70, s0, 0, v87, s0
	v_lshrrev_b32_e32 v87, 24, v89
	v_sub_nc_u16 v89, v48, v90
	v_add_co_u32 v88, s0, s12, v88
	v_add_co_ci_u32_e64 v90, null, s13, 0, s0
	v_mul_lo_u16 v91, 0x1c2, v87
	v_and_b32_e32 v127, 0xffff, v89
	v_add_co_u32 v87, s0, 0x800, v88
	v_add_co_ci_u32_e64 v88, s0, 0, v90, s0
	v_sub_nc_u16 v89, v49, v91
	v_lshlrev_b32_e32 v90, 4, v127
	s_clause 0x1
	global_load_dwordx4 v[111:114], v[69:70], off offset:1472
	global_load_dwordx4 v[115:118], v[87:88], off offset:1472
	v_mul_u32_u24_e32 v0, 0x1518, v0
	v_and_b32_e32 v128, 0xffff, v89
	v_add_co_u32 v69, s0, s12, v90
	v_add_co_ci_u32_e64 v70, null, s13, 0, s0
	v_lshlrev_b32_e32 v87, 4, v128
	v_add_co_u32 v69, s0, 0x800, v69
	v_add_co_ci_u32_e64 v70, s0, 0, v70, s0
	v_add_co_u32 v87, s0, s12, v87
	v_add_co_ci_u32_e64 v88, null, s13, 0, s0
	global_load_dwordx4 v[119:122], v[69:70], off offset:1472
	v_add_co_u32 v69, s0, 0x800, v87
	v_add_co_ci_u32_e64 v70, s0, 0, v88, s0
	v_cmp_lt_u32_e64 s0, 44, v71
	global_load_dwordx4 v[123:126], v[69:70], off offset:1472
	ds_read2_b32 v[69:70], v72 offset0:70 offset1:205
	ds_read2_b32 v[87:88], v43 offset0:12 offset1:147
	;; [unrolled: 1-line block ×4, first 2 shown]
	s_waitcnt vmcnt(9) lgkmcnt(3)
	v_mul_f32_e32 v129, v69, v58
	v_mul_f32_e32 v58, v34, v58
	s_waitcnt vmcnt(8)
	v_mul_f32_e32 v131, v70, v62
	s_waitcnt lgkmcnt(2)
	v_mul_f32_e32 v130, v87, v60
	v_mul_f32_e32 v60, v32, v60
	v_fmac_f32_e32 v129, v34, v57
	v_mul_f32_e32 v34, v35, v62
	v_fmac_f32_e32 v131, v35, v61
	v_fma_f32 v95, v69, v57, -v58
	v_mul_f32_e32 v57, v33, v64
	s_waitcnt vmcnt(7) lgkmcnt(0)
	v_mul_f32_e32 v92, v96, v68
	v_fma_f32 v133, v70, v61, -v34
	ds_read2_b32 v[34:35], v76 offset0:98 offset1:233
	v_fma_f32 v91, v87, v59, -v60
	v_fma_f32 v99, v88, v63, -v57
	v_mul_f32_e32 v57, v28, v68
	v_mul_f32_e32 v132, v88, v64
	;; [unrolled: 1-line block ×4, first 2 shown]
	s_waitcnt vmcnt(6)
	v_mul_f32_e32 v93, v90, v84
	v_fmac_f32_e32 v92, v28, v67
	v_fma_f32 v100, v96, v67, -v57
	v_mul_f32_e32 v28, v31, v84
	v_mul_f32_e32 v96, v97, v86
	;; [unrolled: 1-line block ×3, first 2 shown]
	v_fmac_f32_e32 v130, v32, v59
	v_fmac_f32_e32 v132, v33, v63
	ds_read2_b32 v[32:33], v74 offset0:40 offset1:175
	v_fmac_f32_e32 v87, v30, v65
	v_fmac_f32_e32 v93, v31, v83
	ds_read2_b32 v[30:31], v81 offset0:112 offset1:247
	v_fma_f32 v101, v90, v83, -v28
	s_waitcnt vmcnt(5) lgkmcnt(2)
	v_mul_f32_e32 v66, v34, v104
	v_fmac_f32_e32 v96, v29, v85
	ds_read2_b32 v[28:29], v78 offset0:54 offset1:189
	v_fma_f32 v62, v97, v85, -v57
	v_mul_f32_e32 v57, v26, v104
	v_fmac_f32_e32 v66, v26, v103
	s_waitcnt vmcnt(4)
	v_mul_f32_e32 v68, v35, v108
	v_mul_f32_e32 v26, v27, v108
	v_fma_f32 v102, v89, v65, -v58
	v_fma_f32 v61, v34, v103, -v57
	v_mul_f32_e32 v58, v24, v106
	v_fmac_f32_e32 v68, v27, v107
	v_fma_f32 v90, v35, v107, -v26
	ds_read2_b32 v[26:27], v77 offset0:62 offset1:197
	ds_read2_b32 v[34:35], v82 offset0:68 offset1:203
	s_waitcnt lgkmcnt(4)
	v_mul_f32_e32 v69, v32, v106
	v_mul_f32_e32 v88, v33, v110
	v_fma_f32 v59, v32, v105, -v58
	v_fmac_f32_e32 v69, v24, v105
	v_mul_f32_e32 v24, v25, v110
	v_fmac_f32_e32 v88, v25, v109
	s_waitcnt vmcnt(3) lgkmcnt(3)
	v_mul_f32_e32 v57, v30, v112
	s_waitcnt lgkmcnt(2)
	v_mul_f32_e32 v63, v28, v114
	v_mul_f32_e32 v25, v22, v112
	s_waitcnt vmcnt(2)
	v_mul_f32_e32 v67, v29, v118
	v_fma_f32 v94, v33, v109, -v24
	v_fmac_f32_e32 v57, v22, v111
	v_mul_f32_e32 v22, v20, v114
	v_fmac_f32_e32 v63, v20, v113
	v_mul_f32_e32 v20, v23, v116
	v_fmac_f32_e32 v67, v21, v117
	v_fma_f32 v89, v30, v111, -v25
	v_fma_f32 v85, v28, v113, -v22
	v_mul_f32_e32 v22, v21, v118
	v_fma_f32 v86, v31, v115, -v20
	v_add_nc_u32_e32 v114, 0xe00, v37
	ds_read_b32 v112, v37 offset:3240
	ds_read_b32 v113, v40 offset:4860
	ds_read2_b32 v[103:104], v37 offset1:135
	ds_read2_b32 v[105:106], v75 offset0:14 offset1:149
	ds_read2_b32 v[107:108], v79 offset0:28 offset1:163
	ds_read2_b32 v[109:110], v41 offset0:49 offset1:184
	s_waitcnt vmcnt(0) lgkmcnt(0)
	s_barrier
	v_mul_f32_e32 v58, v26, v120
	v_mul_f32_e32 v20, v18, v120
	;; [unrolled: 1-line block ×4, first 2 shown]
	buffer_gl0_inv
	v_fmac_f32_e32 v58, v18, v119
	v_fma_f32 v83, v26, v119, -v20
	v_fmac_f32_e32 v60, v16, v121
	v_mul_f32_e32 v18, v19, v124
	v_mul_f32_e32 v64, v27, v124
	v_add_f32_e32 v16, v129, v130
	v_fma_f32 v84, v34, v121, -v21
	v_add_f32_e32 v21, v15, v131
	v_fma_f32 v98, v27, v123, -v18
	v_add_f32_e32 v18, v131, v132
	v_fmac_f32_e32 v64, v19, v123
	v_mul_f32_e32 v19, v17, v126
	v_mul_f32_e32 v97, v35, v126
	v_fma_f32 v16, -0.5, v16, v14
	v_fmac_f32_e32 v15, -0.5, v18
	v_sub_f32_e32 v18, v133, v99
	v_sub_f32_e32 v20, v95, v91
	v_fma_f32 v111, v35, v125, -v19
	v_fmac_f32_e32 v97, v17, v125
	v_add_f32_e32 v14, v14, v129
	v_fmamk_f32 v19, v18, 0xbf5db3d7, v15
	v_fmac_f32_e32 v15, 0x3f5db3d7, v18
	v_add_f32_e32 v18, v87, v92
	v_fmamk_f32 v17, v20, 0xbf5db3d7, v16
	v_fmac_f32_e32 v16, 0x3f5db3d7, v20
	v_add_f32_e32 v20, v12, v87
	v_add_f32_e32 v14, v14, v130
	v_fma_f32 v12, -0.5, v18, v12
	v_sub_f32_e32 v18, v102, v100
	v_add_f32_e32 v21, v21, v132
	ds_write2_b32 v114, v16, v15 offset0:4 offset1:139
	v_add_f32_e32 v15, v93, v96
	v_add_f32_e32 v20, v20, v92
	v_fma_f32 v70, v29, v117, -v22
	v_fmamk_f32 v22, v18, 0xbf5db3d7, v12
	ds_write2_b32 v37, v14, v21 offset1:135
	ds_write2_b32 v75, v20, v17 offset0:14 offset1:194
	ds_write2_b32 v79, v19, v22 offset0:73 offset1:208
	v_add_f32_e32 v14, v13, v93
	v_fmac_f32_e32 v13, -0.5, v15
	v_sub_f32_e32 v15, v101, v62
	v_lshlrev_b32_e32 v16, 2, v55
	v_cndmask_b32_e64 v17, 0, 0x1518, s0
	v_fmac_f32_e32 v12, 0x3f5db3d7, v18
	v_add_f32_e32 v19, v66, v69
	v_fmamk_f32 v18, v15, 0xbf5db3d7, v13
	v_fmac_f32_e32 v13, 0x3f5db3d7, v15
	v_add3_u32 v55, 0, v17, v16
	ds_write_b32 v37, v12 offset:4680
	v_add_f32_e32 v12, v68, v88
	v_mul_f32_e32 v65, v31, v116
	v_fma_f32 v15, -0.5, v19, v10
	v_sub_f32_e32 v16, v61, v59
	ds_write_b32 v55, v13 offset:3600
	v_add_f32_e32 v13, v11, v68
	v_fmac_f32_e32 v11, -0.5, v12
	v_sub_f32_e32 v12, v90, v94
	v_add_f32_e32 v14, v14, v96
	v_add_f32_e32 v10, v10, v66
	v_fmac_f32_e32 v65, v23, v115
	v_fmamk_f32 v17, v16, 0xbf5db3d7, v15
	v_fmac_f32_e32 v15, 0x3f5db3d7, v16
	v_fmamk_f32 v16, v12, 0xbf5db3d7, v11
	v_fmac_f32_e32 v11, 0x3f5db3d7, v12
	v_add_nc_u32_e32 v115, 0x2400, v40
	ds_write_b32 v55, v14
	v_add_f32_e32 v10, v10, v69
	v_add_f32_e32 v12, v13, v88
	v_add_nc_u32_e32 v116, 0x1600, v40
	ds_write_b32 v55, v18 offset:1800
	ds_write2_b32 v115, v15, v11 offset0:36 offset1:171
	v_add_f32_e32 v11, v95, v91
	v_add_nc_u32_e32 v117, 0x1c00, v40
	ds_write2_b32 v116, v10, v12 offset0:32 offset1:167
	ds_write2_b32 v117, v17, v16 offset0:98 offset1:233
	v_add_f32_e32 v10, v133, v99
	v_sub_f32_e32 v12, v129, v130
	v_fma_f32 v118, -0.5, v11, v103
	v_add_f32_e32 v11, v57, v63
	v_add_f32_e32 v119, v104, v133
	v_fmac_f32_e32 v104, -0.5, v10
	v_sub_f32_e32 v10, v131, v132
	v_fmamk_f32 v120, v12, 0x3f5db3d7, v118
	v_add_f32_e32 v13, v54, v57
	v_fmac_f32_e32 v54, -0.5, v11
	v_sub_f32_e32 v11, v89, v85
	v_fmac_f32_e32 v118, 0xbf5db3d7, v12
	v_add_f32_e32 v12, v65, v67
	v_fmamk_f32 v121, v10, 0x3f5db3d7, v104
	v_fmac_f32_e32 v104, 0xbf5db3d7, v10
	v_fmamk_f32 v10, v11, 0xbf5db3d7, v54
	v_fmac_f32_e32 v54, 0x3f5db3d7, v11
	v_fma_f32 v11, -0.5, v12, v8
	v_add_f32_e32 v12, v58, v60
	v_lshlrev_b32_sdwa v14, v47, v56 dst_sel:DWORD dst_unused:UNUSED_PAD src0_sel:DWORD src1_sel:WORD_0
	v_sub_f32_e32 v15, v86, v70
	v_add_f32_e32 v16, v9, v58
	v_add_f32_e32 v8, v8, v65
	v_fmac_f32_e32 v9, -0.5, v12
	v_sub_f32_e32 v12, v83, v84
	v_add3_u32 v0, 0, v0, v14
	v_fmamk_f32 v14, v15, 0xbf5db3d7, v11
	v_fmac_f32_e32 v11, 0x3f5db3d7, v15
	v_add_f32_e32 v13, v13, v63
	v_fmamk_f32 v15, v12, 0xbf5db3d7, v9
	v_fmac_f32_e32 v9, 0x3f5db3d7, v12
	v_add_f32_e32 v12, v64, v97
	v_lshl_add_u32 v56, v50, 2, 0
	ds_write_b32 v0, v10 offset:1800
	v_lshl_add_u32 v122, v127, 2, 0
	v_add_f32_e32 v10, v53, v64
	v_fmac_f32_e32 v53, -0.5, v12
	v_sub_f32_e32 v12, v98, v111
	v_add_f32_e32 v8, v8, v67
	ds_write_b32 v0, v13
	ds_write_b32 v0, v54 offset:3600
	ds_write_b32 v56, v11 offset:14400
	;; [unrolled: 1-line block ×3, first 2 shown]
	v_add_f32_e32 v11, v16, v60
	v_fmamk_f32 v9, v12, 0xbf5db3d7, v53
	v_fmac_f32_e32 v53, 0x3f5db3d7, v12
	v_add_f32_e32 v10, v10, v97
	v_lshl_add_u32 v54, v128, 2, 0
	ds_write_b32 v56, v8 offset:10800
	ds_write_b32 v56, v14 offset:12600
	;; [unrolled: 1-line block ×7, first 2 shown]
	v_add_f32_e32 v53, v103, v95
	v_add_f32_e32 v95, v105, v102
	;; [unrolled: 1-line block ×3, first 2 shown]
	v_sub_f32_e32 v87, v87, v92
	s_waitcnt lgkmcnt(0)
	v_add_f32_e32 v53, v53, v91
	v_add_f32_e32 v91, v102, v100
	s_barrier
	buffer_gl0_inv
	ds_read_b32 v47, v37 offset:3240
	ds_read_b32 v50, v40 offset:4860
	ds_read2_b32 v[30:31], v37 offset1:135
	ds_read2_b32 v[32:33], v72 offset0:70 offset1:205
	ds_read2_b32 v[34:35], v43 offset0:12 offset1:147
	ds_read2_b32 v[8:9], v75 offset0:14 offset1:149
	ds_read2_b32 v[12:13], v73 offset0:84 offset1:219
	ds_read2_b32 v[14:15], v80 offset0:26 offset1:161
	ds_read2_b32 v[10:11], v79 offset0:28 offset1:163
	ds_read2_b32 v[16:17], v76 offset0:98 offset1:233
	ds_read2_b32 v[18:19], v74 offset0:40 offset1:175
	ds_read2_b32 v[22:23], v81 offset0:112 offset1:247
	ds_read2_b32 v[24:25], v78 offset0:54 offset1:189
	ds_read2_b32 v[20:21], v41 offset0:49 offset1:184
	ds_read2_b32 v[26:27], v77 offset0:62 offset1:197
	ds_read2_b32 v[28:29], v82 offset0:68 offset1:203
	s_waitcnt lgkmcnt(0)
	v_fma_f32 v91, -0.5, v91, v105
	s_barrier
	buffer_gl0_inv
	v_add_f32_e32 v102, v101, v62
	v_add_f32_e32 v95, v95, v100
	ds_write2_b32 v37, v53, v99 offset1:135
	v_fmamk_f32 v53, v87, 0x3f5db3d7, v91
	v_fmac_f32_e32 v91, 0xbf5db3d7, v87
	ds_write2_b32 v114, v118, v104 offset0:4 offset1:139
	v_add_f32_e32 v92, v106, v101
	v_fmac_f32_e32 v106, -0.5, v102
	v_sub_f32_e32 v93, v93, v96
	ds_write2_b32 v75, v95, v120 offset0:14 offset1:194
	ds_write2_b32 v79, v121, v53 offset0:73 offset1:208
	ds_write_b32 v37, v91 offset:4680
	v_add_f32_e32 v53, v61, v59
	v_add_f32_e32 v91, v90, v94
	v_fmamk_f32 v87, v93, 0x3f5db3d7, v106
	v_fmac_f32_e32 v106, 0xbf5db3d7, v93
	v_sub_f32_e32 v66, v66, v69
	v_add_f32_e32 v69, v108, v90
	v_fma_f32 v53, -0.5, v53, v107
	v_fmac_f32_e32 v108, -0.5, v91
	v_sub_f32_e32 v68, v68, v88
	v_add_f32_e32 v62, v92, v62
	v_add_f32_e32 v61, v107, v61
	ds_write_b32 v55, v106 offset:3600
	v_fmamk_f32 v88, v66, 0x3f5db3d7, v53
	v_fmac_f32_e32 v53, 0xbf5db3d7, v66
	v_fmamk_f32 v66, v68, 0x3f5db3d7, v108
	v_fmac_f32_e32 v108, 0xbf5db3d7, v68
	ds_write_b32 v55, v62
	ds_write_b32 v55, v87 offset:1800
	v_add_f32_e32 v55, v89, v85
	v_add_f32_e32 v59, v61, v59
	;; [unrolled: 1-line block ×3, first 2 shown]
	ds_write2_b32 v115, v53, v108 offset0:36 offset1:171
	ds_write2_b32 v116, v59, v61 offset0:32 offset1:167
	v_add_f32_e32 v53, v112, v89
	v_fmac_f32_e32 v112, -0.5, v55
	v_add_f32_e32 v55, v86, v70
	v_sub_f32_e32 v57, v57, v63
	v_add_f32_e32 v59, v109, v86
	v_sub_f32_e32 v61, v65, v67
	v_add_f32_e32 v53, v53, v85
	v_fma_f32 v55, -0.5, v55, v109
	v_fmamk_f32 v62, v57, 0x3f5db3d7, v112
	v_fmac_f32_e32 v112, 0xbf5db3d7, v57
	v_add_f32_e32 v57, v59, v70
	v_add_f32_e32 v59, v83, v84
	v_fmamk_f32 v63, v61, 0x3f5db3d7, v55
	v_fmac_f32_e32 v55, 0xbf5db3d7, v61
	v_add_f32_e32 v61, v98, v111
	v_add_f32_e32 v65, v110, v83
	v_fmac_f32_e32 v110, -0.5, v59
	v_sub_f32_e32 v58, v58, v60
	v_add_f32_e32 v59, v113, v98
	v_fmac_f32_e32 v113, -0.5, v61
	v_sub_f32_e32 v60, v64, v97
	ds_write2_b32 v117, v88, v66 offset0:98 offset1:233
	v_add_f32_e32 v61, v65, v84
	v_fmamk_f32 v64, v58, 0x3f5db3d7, v110
	v_fmac_f32_e32 v110, 0xbf5db3d7, v58
	v_add_f32_e32 v58, v59, v111
	v_fmamk_f32 v59, v60, 0x3f5db3d7, v113
	v_fmac_f32_e32 v113, 0xbf5db3d7, v60
	ds_write_b32 v0, v53
	ds_write_b32 v0, v62 offset:1800
	ds_write_b32 v0, v112 offset:3600
	;; [unrolled: 1-line block ×11, first 2 shown]
	s_waitcnt lgkmcnt(0)
	s_barrier
	buffer_gl0_inv
	s_and_saveexec_b32 s0, vcc_lo
	s_cbranch_execz .LBB0_15
; %bb.14:
	v_add_co_u32 v51, vcc_lo, 0x2800, v51
	v_add_co_ci_u32_e32 v52, vcc_lo, 0, v52, vcc_lo
	v_add_co_u32 v2, vcc_lo, 0x2800, v2
	v_lshlrev_b32_e32 v0, 1, v49
	v_add_co_ci_u32_e32 v3, vcc_lo, 0, v3, vcc_lo
	s_clause 0x1
	global_load_dwordx4 v[51:54], v[51:52], off offset:480
	global_load_dwordx4 v[55:58], v[2:3], off offset:480
	v_lshlrev_b64 v[2:3], 3, v[0:1]
	v_lshlrev_b32_e32 v0, 1, v48
	v_add_nc_u32_e32 v111, 0x87, v71
	v_add_nc_u32_e32 v113, 0x10e, v71
	v_lshlrev_b64 v[4:5], 3, v[4:5]
	v_mov_b32_e32 v112, v1
	v_add_co_u32 v2, vcc_lo, s12, v2
	v_add_co_ci_u32_e32 v3, vcc_lo, s13, v3, vcc_lo
	v_lshlrev_b64 v[48:49], 3, v[0:1]
	v_add_co_u32 v2, vcc_lo, 0x2800, v2
	v_add_co_ci_u32_e32 v3, vcc_lo, 0, v3, vcc_lo
	v_lshlrev_b32_e32 v0, 1, v46
	v_add_nc_u32_e32 v117, 0x195, v71
	global_load_dwordx4 v[59:62], v[2:3], off offset:480
	v_add_co_u32 v2, vcc_lo, s12, v48
	v_add_co_ci_u32_e32 v3, vcc_lo, s13, v49, vcc_lo
	v_lshlrev_b64 v[48:49], 3, v[0:1]
	v_add_co_u32 v2, vcc_lo, 0x2800, v2
	v_add_co_ci_u32_e32 v3, vcc_lo, 0, v3, vcc_lo
	v_lshlrev_b32_e32 v0, 1, v45
	v_mul_hi_u32 v118, 0xc22e4507, v117
	global_load_dwordx4 v[63:66], v[2:3], off offset:480
	v_add_co_u32 v2, vcc_lo, s12, v48
	v_add_co_ci_u32_e32 v3, vcc_lo, s13, v49, vcc_lo
	v_lshlrev_b64 v[45:46], 3, v[0:1]
	v_add_co_u32 v2, vcc_lo, 0x2800, v2
	v_add_co_ci_u32_e32 v3, vcc_lo, 0, v3, vcc_lo
	v_add_co_u32 v0, vcc_lo, s12, v45
	global_load_dwordx4 v[67:70], v[2:3], off offset:480
	v_add_co_ci_u32_e32 v3, vcc_lo, s13, v46, vcc_lo
	v_add_co_u32 v2, vcc_lo, 0x2800, v0
	v_lshlrev_b32_e32 v0, 1, v39
	v_add_co_ci_u32_e32 v3, vcc_lo, 0, v3, vcc_lo
	global_load_dwordx4 v[83:86], v[2:3], off offset:480
	v_lshlrev_b64 v[2:3], 3, v[0:1]
	v_add_co_u32 v0, vcc_lo, s12, v2
	v_add_co_ci_u32_e32 v3, vcc_lo, s13, v3, vcc_lo
	v_add_co_u32 v2, vcc_lo, 0x2800, v0
	v_add_co_ci_u32_e32 v3, vcc_lo, 0, v3, vcc_lo
	v_lshlrev_b32_e32 v0, 1, v38
	global_load_dwordx4 v[87:90], v[2:3], off offset:480
	v_lshlrev_b64 v[2:3], 3, v[0:1]
	v_add_co_u32 v0, vcc_lo, s12, v2
	v_add_co_ci_u32_e32 v3, vcc_lo, s13, v3, vcc_lo
	v_add_co_u32 v2, vcc_lo, 0x2800, v0
	v_add_co_ci_u32_e32 v3, vcc_lo, 0, v3, vcc_lo
	v_lshlrev_b32_e32 v0, 1, v36
	v_mul_lo_u32 v36, s2, v7
	global_load_dwordx4 v[91:94], v[2:3], off offset:480
	v_lshlrev_b64 v[2:3], 3, v[0:1]
	v_add_co_u32 v0, vcc_lo, s12, v2
	v_add_co_ci_u32_e32 v3, vcc_lo, s13, v3, vcc_lo
	v_add_co_u32 v2, vcc_lo, 0x2800, v0
	v_add_co_ci_u32_e32 v3, vcc_lo, 0, v3, vcc_lo
	;; [unrolled: 2-line block ×3, first 2 shown]
	s_clause 0x1
	global_load_dwordx4 v[95:98], v[2:3], off offset:480
	global_load_dwordx4 v[99:102], v[38:39], off offset:480
	v_mul_lo_u32 v0, s3, v6
	v_mad_u64_u32 v[2:3], null, s2, v6, 0
	ds_read2_b32 v[6:7], v77 offset0:62 offset1:197
	ds_read2_b32 v[38:39], v82 offset0:68 offset1:203
	;; [unrolled: 1-line block ×5, first 2 shown]
	ds_read_b32 v40, v40 offset:4860
	ds_read_b32 v46, v37 offset:3240
	ds_read2_b32 v[77:78], v79 offset0:28 offset1:163
	ds_read2_b32 v[81:82], v76 offset0:98 offset1:233
	ds_read2_b32 v[103:104], v74 offset0:40 offset1:175
	ds_read2_b32 v[74:75], v75 offset0:14 offset1:149
	ds_read2_b32 v[105:106], v73 offset0:84 offset1:219
	ds_read2_b32 v[79:80], v80 offset0:26 offset1:161
	v_mul_hi_u32 v76, 0xc22e4507, v71
	ds_read2_b32 v[107:108], v37 offset1:135
	ds_read2_b32 v[72:73], v72 offset0:70 offset1:205
	ds_read2_b32 v[109:110], v43 offset0:12 offset1:147
	v_mul_hi_u32 v37, 0xc22e4507, v111
	v_mul_hi_u32 v43, 0xc22e4507, v113
	v_add3_u32 v3, v3, v36, v0
	v_lshrrev_b32_e32 v76, 10, v76
	v_lshlrev_b64 v[2:3], 3, v[2:3]
	v_lshrrev_b32_e32 v43, 10, v43
	v_mul_u32_u24_e32 v0, 0x546, v76
	v_lshrrev_b32_e32 v76, 10, v37
	v_add_co_u32 v2, vcc_lo, s10, v2
	v_sub_nc_u32_e32 v0, v71, v0
	v_mul_u32_u24_e32 v36, 0x546, v76
	v_mul_u32_u24_e32 v37, 0x546, v43
	v_add_co_ci_u32_e32 v3, vcc_lo, s11, v3, vcc_lo
	v_lshlrev_b32_e32 v114, 3, v0
	v_sub_nc_u32_e32 v0, v111, v36
	v_add_co_u32 v36, vcc_lo, v2, v4
	v_sub_nc_u32_e32 v119, v113, v37
	v_add_co_ci_u32_e32 v37, vcc_lo, v3, v5, vcc_lo
	v_mad_u32_u24 v0, 0xfd2, v76, v0
	v_add_co_u32 v2, vcc_lo, v36, v114
	v_add_co_ci_u32_e32 v3, vcc_lo, 0, v37, vcc_lo
	v_lshlrev_b64 v[4:5], 3, v[0:1]
	v_add_nc_u32_e32 v111, 0x546, v0
	v_add_nc_u32_e32 v0, 0xa8c, v0
	v_add_co_u32 v113, vcc_lo, 0x2800, v2
	v_add_co_ci_u32_e32 v114, vcc_lo, 0, v3, vcc_lo
	v_lshlrev_b64 v[115:116], 3, v[0:1]
	v_mad_u32_u24 v0, 0xfd2, v43, v119
	v_lshlrev_b64 v[111:112], 3, v[111:112]
	v_add_co_u32 v4, vcc_lo, v36, v4
	v_add_co_ci_u32_e32 v5, vcc_lo, v37, v5, vcc_lo
	v_add_co_u32 v111, vcc_lo, v36, v111
	v_add_co_ci_u32_e32 v112, vcc_lo, v37, v112, vcc_lo
	s_waitcnt vmcnt(9)
	v_mul_f32_e32 v76, v35, v54
	s_waitcnt lgkmcnt(0)
	v_mul_f32_e32 v54, v110, v54
	v_mul_f32_e32 v43, v33, v52
	;; [unrolled: 1-line block ×3, first 2 shown]
	s_waitcnt vmcnt(8)
	v_mul_f32_e32 v120, v32, v56
	v_mul_f32_e32 v121, v34, v58
	;; [unrolled: 1-line block ×3, first 2 shown]
	v_fmac_f32_e32 v54, v35, v53
	v_mul_f32_e32 v35, v109, v58
	v_fma_f32 v43, v51, v73, -v43
	v_fma_f32 v73, v53, v110, -v76
	v_fmac_f32_e32 v119, v33, v51
	v_fma_f32 v33, v55, v72, -v120
	v_fma_f32 v53, v57, v109, -v121
	v_fmac_f32_e32 v56, v32, v55
	v_fmac_f32_e32 v35, v34, v57
	v_add_f32_e32 v55, v119, v54
	v_add_f32_e32 v58, v31, v119
	;; [unrolled: 1-line block ×7, first 2 shown]
	v_sub_f32_e32 v57, v119, v54
	v_add_f32_e32 v34, v108, v43
	v_sub_f32_e32 v76, v56, v35
	v_sub_f32_e32 v119, v33, v53
	v_fma_f32 v31, -0.5, v55, v31
	v_add_f32_e32 v33, v58, v54
	v_fma_f32 v54, -0.5, v72, v107
	v_add_f32_e32 v56, v109, v53
	;; [unrolled: 2-line block ×3, first 2 shown]
	s_waitcnt vmcnt(7)
	v_mul_f32_e32 v30, v27, v60
	v_mul_f32_e32 v35, v29, v62
	;; [unrolled: 1-line block ×4, first 2 shown]
	v_add_co_u32 v51, vcc_lo, 0x5000, v2
	v_add_co_ci_u32_e32 v52, vcc_lo, 0, v3, vcc_lo
	v_sub_f32_e32 v43, v43, v73
	v_fma_f32 v32, -0.5, v32, v108
	v_add_f32_e32 v34, v34, v73
	v_fmamk_f32 v73, v76, 0xbf5db3d7, v54
	v_fmac_f32_e32 v54, 0x3f5db3d7, v76
	v_fmamk_f32 v72, v119, 0x3f5db3d7, v53
	v_fmac_f32_e32 v53, 0xbf5db3d7, v119
	global_store_dwordx2 v[2:3], v[55:56], off
	v_fma_f32 v2, v59, v7, -v30
	v_fma_f32 v7, v61, v39, -v35
	v_fmac_f32_e32 v60, v27, v59
	v_fmac_f32_e32 v62, v29, v61
	s_waitcnt vmcnt(6)
	v_mul_f32_e32 v3, v26, v64
	v_mul_f32_e32 v27, v28, v66
	;; [unrolled: 1-line block ×4, first 2 shown]
	v_fmamk_f32 v58, v57, 0xbf5db3d7, v32
	v_fmac_f32_e32 v32, 0x3f5db3d7, v57
	v_fmamk_f32 v57, v43, 0x3f5db3d7, v31
	v_fmac_f32_e32 v31, 0xbf5db3d7, v43
	global_store_dwordx2 v[113:114], v[53:54], off offset:560
	global_store_dwordx2 v[51:52], v[72:73], off offset:1120
	global_store_dwordx2 v[4:5], v[33:34], off
	v_add_f32_e32 v4, v2, v7
	v_add_f32_e32 v34, v60, v62
	;; [unrolled: 1-line block ×3, first 2 shown]
	v_fma_f32 v6, v63, v6, -v3
	v_fma_f32 v27, v65, v38, -v27
	v_fmac_f32_e32 v29, v26, v63
	v_fmac_f32_e32 v30, v28, v65
	s_waitcnt vmcnt(5)
	v_mul_f32_e32 v26, v23, v68
	v_mul_f32_e32 v28, v25, v70
	;; [unrolled: 1-line block ×4, first 2 shown]
	v_sub_f32_e32 v33, v60, v62
	v_add_f32_e32 v5, v40, v2
	v_sub_f32_e32 v35, v2, v7
	v_fma_f32 v3, -0.5, v4, v40
	v_fma_f32 v2, -0.5, v34, v50
	v_add_f32_e32 v4, v39, v62
	v_add_f32_e32 v34, v6, v27
	v_sub_f32_e32 v39, v29, v30
	v_add_f32_e32 v40, v42, v6
	v_add_f32_e32 v50, v29, v30
	;; [unrolled: 1-line block ×3, first 2 shown]
	v_fma_f32 v45, v67, v45, -v26
	v_fma_f32 v49, v69, v49, -v28
	v_fmac_f32_e32 v38, v23, v67
	v_fmac_f32_e32 v43, v25, v69
	s_waitcnt vmcnt(4)
	v_mul_f32_e32 v23, v22, v84
	v_mul_f32_e32 v52, v24, v86
	;; [unrolled: 1-line block ×4, first 2 shown]
	v_add_f32_e32 v5, v5, v7
	v_sub_f32_e32 v51, v6, v27
	v_fmamk_f32 v7, v33, 0xbf5db3d7, v3
	v_fmac_f32_e32 v3, 0x3f5db3d7, v33
	v_fmamk_f32 v6, v35, 0x3f5db3d7, v2
	v_fmac_f32_e32 v2, 0xbf5db3d7, v35
	v_fma_f32 v26, -0.5, v34, v42
	v_add_f32_e32 v28, v40, v27
	v_fma_f32 v25, -0.5, v50, v21
	v_add_f32_e32 v27, v29, v30
	v_add_f32_e32 v29, v45, v49
	v_sub_f32_e32 v33, v38, v43
	v_add_f32_e32 v30, v41, v45
	v_add_f32_e32 v34, v38, v43
	v_sub_f32_e32 v35, v45, v49
	v_add_f32_e32 v38, v20, v38
	v_fma_f32 v40, v83, v44, -v23
	v_fma_f32 v42, v85, v48, -v52
	v_fmac_f32_e32 v53, v22, v83
	v_fmac_f32_e32 v54, v24, v85
	s_waitcnt vmcnt(3)
	v_mul_f32_e32 v44, v17, v88
	v_mul_f32_e32 v45, v19, v90
	;; [unrolled: 1-line block ×4, first 2 shown]
	v_fmamk_f32 v21, v51, 0x3f5db3d7, v25
	v_fmac_f32_e32 v25, 0xbf5db3d7, v51
	v_fma_f32 v24, -0.5, v29, v41
	v_add_f32_e32 v30, v30, v49
	v_fma_f32 v23, -0.5, v34, v20
	v_add_f32_e32 v29, v38, v43
	v_add_f32_e32 v34, v40, v42
	v_sub_f32_e32 v41, v53, v54
	v_add_f32_e32 v38, v46, v40
	v_add_f32_e32 v43, v53, v54
	;; [unrolled: 1-line block ×3, first 2 shown]
	v_fma_f32 v44, v87, v82, -v44
	v_fma_f32 v45, v89, v104, -v45
	v_fmac_f32_e32 v48, v17, v87
	v_fmac_f32_e32 v50, v19, v89
	s_waitcnt vmcnt(2)
	v_mul_f32_e32 v17, v16, v92
	v_mul_f32_e32 v51, v18, v94
	;; [unrolled: 1-line block ×4, first 2 shown]
	v_fmamk_f32 v22, v39, 0xbf5db3d7, v26
	v_fmac_f32_e32 v26, 0x3f5db3d7, v39
	v_sub_f32_e32 v40, v40, v42
	v_fmamk_f32 v20, v33, 0xbf5db3d7, v24
	v_fmac_f32_e32 v24, 0x3f5db3d7, v33
	v_fmamk_f32 v19, v35, 0x3f5db3d7, v23
	v_fmac_f32_e32 v23, 0xbf5db3d7, v35
	v_fma_f32 v34, -0.5, v34, v46
	v_add_f32_e32 v39, v38, v42
	v_fma_f32 v33, -0.5, v43, v47
	v_add_f32_e32 v38, v49, v54
	v_add_f32_e32 v35, v44, v45
	v_sub_f32_e32 v46, v48, v50
	v_add_f32_e32 v42, v78, v44
	v_add_f32_e32 v47, v48, v50
	;; [unrolled: 1-line block ×3, first 2 shown]
	v_fma_f32 v49, v91, v81, -v17
	v_fma_f32 v51, v93, v103, -v51
	v_fmac_f32_e32 v52, v16, v91
	v_fmac_f32_e32 v53, v18, v93
	s_waitcnt vmcnt(1)
	v_mul_f32_e32 v18, v13, v96
	v_mul_f32_e32 v54, v15, v98
	;; [unrolled: 1-line block ×4, first 2 shown]
	s_waitcnt vmcnt(0)
	v_mul_f32_e32 v59, v12, v100
	v_mul_f32_e32 v60, v14, v102
	;; [unrolled: 1-line block ×4, first 2 shown]
	v_sub_f32_e32 v44, v44, v45
	v_fmamk_f32 v17, v41, 0xbf5db3d7, v34
	v_fmac_f32_e32 v34, 0x3f5db3d7, v41
	v_fmamk_f32 v16, v40, 0x3f5db3d7, v33
	v_fmac_f32_e32 v33, 0xbf5db3d7, v40
	v_fma_f32 v41, -0.5, v35, v78
	v_add_f32_e32 v43, v42, v45
	v_fma_f32 v40, -0.5, v47, v11
	v_add_f32_e32 v42, v48, v50
	v_add_f32_e32 v35, v49, v51
	v_sub_f32_e32 v48, v52, v53
	v_add_f32_e32 v45, v77, v49
	v_add_f32_e32 v47, v52, v53
	;; [unrolled: 1-line block ×3, first 2 shown]
	v_fma_f32 v18, v95, v106, -v18
	v_fma_f32 v52, v97, v80, -v54
	v_fmac_f32_e32 v55, v13, v95
	v_fmac_f32_e32 v56, v15, v97
	v_fma_f32 v15, v99, v105, -v59
	v_fma_f32 v54, v101, v79, -v60
	v_fmac_f32_e32 v61, v12, v99
	v_fmac_f32_e32 v62, v14, v101
	v_sub_f32_e32 v49, v49, v51
	v_fmamk_f32 v11, v44, 0x3f5db3d7, v40
	v_fmac_f32_e32 v40, 0xbf5db3d7, v44
	v_fma_f32 v14, -0.5, v35, v77
	v_add_f32_e32 v45, v45, v51
	v_fma_f32 v13, -0.5, v47, v10
	v_add_f32_e32 v44, v50, v53
	v_sub_f32_e32 v35, v55, v56
	v_add_f32_e32 v50, v75, v18
	v_add_f32_e32 v51, v55, v56
	;; [unrolled: 1-line block ×5, first 2 shown]
	v_fmamk_f32 v12, v46, 0xbf5db3d7, v41
	v_fmac_f32_e32 v41, 0x3f5db3d7, v46
	v_sub_f32_e32 v59, v61, v62
	v_add_f32_e32 v60, v74, v15
	v_sub_f32_e32 v15, v15, v54
	v_add_f32_e32 v61, v8, v61
	v_fmamk_f32 v46, v49, 0x3f5db3d7, v13
	v_fmac_f32_e32 v13, 0xbf5db3d7, v49
	v_add_f32_e32 v49, v50, v52
	v_fma_f32 v9, -0.5, v51, v9
	v_fma_f32 v51, -0.5, v55, v74
	;; [unrolled: 1-line block ×3, first 2 shown]
	v_lshrrev_b32_e32 v8, 10, v118
	v_add_f32_e32 v10, v18, v52
	v_sub_f32_e32 v18, v18, v52
	v_fmamk_f32 v47, v48, 0xbf5db3d7, v14
	v_fmac_f32_e32 v14, 0x3f5db3d7, v48
	v_add_f32_e32 v48, v53, v56
	v_add_f32_e32 v53, v60, v54
	v_fmamk_f32 v60, v59, 0xbf5db3d7, v51
	v_fmac_f32_e32 v51, 0x3f5db3d7, v59
	v_fmamk_f32 v59, v15, 0x3f5db3d7, v50
	v_fmac_f32_e32 v50, 0xbf5db3d7, v15
	v_mul_u32_u24_e32 v15, 0x546, v8
	v_add_nc_u32_e32 v63, 0x546, v0
	v_mov_b32_e32 v64, v1
	v_add_f32_e32 v52, v61, v62
	v_lshlrev_b64 v[61:62], 3, v[0:1]
	v_fmamk_f32 v54, v18, 0x3f5db3d7, v9
	v_fmac_f32_e32 v9, 0xbf5db3d7, v18
	v_add_nc_u32_e32 v0, 0xa8c, v0
	v_sub_nc_u32_e32 v15, v117, v15
	v_add_nc_u32_e32 v18, 0x21c, v71
	v_add_co_u32 v65, vcc_lo, v36, v115
	v_lshlrev_b64 v[63:64], 3, v[63:64]
	v_add_co_ci_u32_e32 v66, vcc_lo, v37, v116, vcc_lo
	v_add_co_u32 v61, vcc_lo, v36, v61
	v_lshlrev_b64 v[67:68], 3, v[0:1]
	v_mad_u32_u24 v0, 0xfd2, v8, v15
	v_mul_hi_u32 v8, 0xc22e4507, v18
	v_add_co_ci_u32_e32 v62, vcc_lo, v37, v62, vcc_lo
	v_add_co_u32 v63, vcc_lo, v36, v63
	v_add_co_ci_u32_e32 v64, vcc_lo, v37, v64, vcc_lo
	global_store_dwordx2 v[111:112], v[31:32], off
	global_store_dwordx2 v[65:66], v[57:58], off
	;; [unrolled: 1-line block ×4, first 2 shown]
	v_add_nc_u32_e32 v50, 0x546, v0
	v_mov_b32_e32 v51, v1
	v_lshrrev_b32_e32 v8, 10, v8
	v_lshlrev_b64 v[31:32], 3, v[0:1]
	v_add_co_u32 v52, vcc_lo, v36, v67
	v_lshlrev_b64 v[50:51], 3, v[50:51]
	v_mul_u32_u24_e32 v15, 0x546, v8
	v_add_co_ci_u32_e32 v53, vcc_lo, v37, v68, vcc_lo
	v_fma_f32 v10, -0.5, v10, v75
	v_add_co_u32 v31, vcc_lo, v36, v31
	v_add_co_ci_u32_e32 v32, vcc_lo, v37, v32, vcc_lo
	v_add_nc_u32_e32 v0, 0xa8c, v0
	v_sub_nc_u32_e32 v15, v18, v15
	v_add_co_u32 v50, vcc_lo, v36, v50
	v_add_nc_u32_e32 v18, 0x2a3, v71
	v_fmamk_f32 v55, v35, 0xbf5db3d7, v10
	v_fmac_f32_e32 v10, 0x3f5db3d7, v35
	v_add_co_ci_u32_e32 v51, vcc_lo, v37, v51, vcc_lo
	v_lshlrev_b64 v[56:57], 3, v[0:1]
	v_mad_u32_u24 v0, 0xfd2, v8, v15
	global_store_dwordx2 v[52:53], v[59:60], off
	global_store_dwordx2 v[31:32], v[48:49], off
	;; [unrolled: 1-line block ×3, first 2 shown]
	v_mul_hi_u32 v10, 0xc22e4507, v18
	v_mov_b32_e32 v49, v1
	v_lshlrev_b64 v[8:9], 3, v[0:1]
	v_add_co_u32 v31, vcc_lo, v36, v56
	v_add_co_ci_u32_e32 v32, vcc_lo, v37, v57, vcc_lo
	v_lshrrev_b32_e32 v10, 10, v10
	v_add_co_u32 v8, vcc_lo, v36, v8
	v_add_nc_u32_e32 v48, 0x546, v0
	v_add_co_ci_u32_e32 v9, vcc_lo, v37, v9, vcc_lo
	v_add_nc_u32_e32 v0, 0xa8c, v0
	v_mul_u32_u24_e32 v15, 0x546, v10
	global_store_dwordx2 v[31:32], v[54:55], off
	global_store_dwordx2 v[8:9], v[44:45], off
	v_lshlrev_b64 v[31:32], 3, v[48:49]
	v_lshlrev_b64 v[8:9], 3, v[0:1]
	v_sub_nc_u32_e32 v0, v18, v15
	v_add_nc_u32_e32 v15, 0x32a, v71
	v_mov_b32_e32 v45, v1
	v_add_co_u32 v31, vcc_lo, v36, v31
	v_mad_u32_u24 v0, 0xfd2, v10, v0
	v_mul_hi_u32 v10, 0xc22e4507, v15
	v_add_co_ci_u32_e32 v32, vcc_lo, v37, v32, vcc_lo
	v_add_co_u32 v8, vcc_lo, v36, v8
	v_add_nc_u32_e32 v44, 0x546, v0
	global_store_dwordx2 v[31:32], v[13:14], off
	v_lshlrev_b64 v[13:14], 3, v[0:1]
	v_lshrrev_b32_e32 v10, 10, v10
	v_add_nc_u32_e32 v0, 0xa8c, v0
	v_add_co_ci_u32_e32 v9, vcc_lo, v37, v9, vcc_lo
	v_mul_u32_u24_e32 v18, 0x546, v10
	v_lshlrev_b64 v[31:32], 3, v[0:1]
	global_store_dwordx2 v[8:9], v[46:47], off
	v_lshlrev_b64 v[8:9], 3, v[44:45]
	v_add_co_u32 v13, vcc_lo, v36, v13
	v_sub_nc_u32_e32 v0, v15, v18
	v_add_nc_u32_e32 v15, 0x3b1, v71
	v_add_co_ci_u32_e32 v14, vcc_lo, v37, v14, vcc_lo
	v_add_co_u32 v8, vcc_lo, v36, v8
	v_mul_hi_u32 v18, 0xc22e4507, v15
	v_add_co_ci_u32_e32 v9, vcc_lo, v37, v9, vcc_lo
	v_mad_u32_u24 v0, 0xfd2, v10, v0
	v_add_co_u32 v31, vcc_lo, v36, v31
	v_add_co_ci_u32_e32 v32, vcc_lo, v37, v32, vcc_lo
	global_store_dwordx2 v[13:14], v[42:43], off
	global_store_dwordx2 v[8:9], v[40:41], off
	v_lshrrev_b32_e32 v13, 10, v18
	v_lshlrev_b64 v[8:9], 3, v[0:1]
	global_store_dwordx2 v[31:32], v[11:12], off
	v_add_nc_u32_e32 v18, 0x438, v71
	v_add_nc_u32_e32 v10, 0x546, v0
	v_mul_u32_u24_e32 v12, 0x546, v13
	v_add_nc_u32_e32 v0, 0xa8c, v0
	v_add_co_u32 v8, vcc_lo, v36, v8
	v_add_co_ci_u32_e32 v9, vcc_lo, v37, v9, vcc_lo
	v_sub_nc_u32_e32 v12, v15, v12
	v_mul_hi_u32 v31, 0xc22e4507, v18
	v_mov_b32_e32 v11, v1
	global_store_dwordx2 v[8:9], v[38:39], off
	v_lshlrev_b64 v[8:9], 3, v[0:1]
	v_mad_u32_u24 v0, 0xfd2, v13, v12
	v_mov_b32_e32 v15, v1
	v_lshlrev_b64 v[10:11], 3, v[10:11]
	v_add_nc_u32_e32 v38, 0x4bf, v71
	v_lshrrev_b32_e32 v35, 10, v31
	v_add_nc_u32_e32 v14, 0x546, v0
	v_lshlrev_b64 v[12:13], 3, v[0:1]
	v_add_nc_u32_e32 v0, 0xa8c, v0
	v_add_co_u32 v10, vcc_lo, v36, v10
	v_mul_u32_u24_e32 v31, 0x546, v35
	v_add_co_ci_u32_e32 v11, vcc_lo, v37, v11, vcc_lo
	v_add_co_u32 v8, vcc_lo, v36, v8
	v_lshlrev_b64 v[14:15], 3, v[14:15]
	v_add_co_ci_u32_e32 v9, vcc_lo, v37, v9, vcc_lo
	v_mul_hi_u32 v39, 0xc22e4507, v38
	v_add_co_u32 v12, vcc_lo, v36, v12
	v_sub_nc_u32_e32 v18, v18, v31
	v_add_co_ci_u32_e32 v13, vcc_lo, v37, v13, vcc_lo
	v_add_co_u32 v14, vcc_lo, v36, v14
	v_add_co_ci_u32_e32 v15, vcc_lo, v37, v15, vcc_lo
	v_lshlrev_b64 v[31:32], 3, v[0:1]
	v_mad_u32_u24 v0, 0xfd2, v35, v18
	global_store_dwordx2 v[10:11], v[33:34], off
	global_store_dwordx2 v[8:9], v[16:17], off
	;; [unrolled: 1-line block ×4, first 2 shown]
	v_lshrrev_b32_e32 v14, 10, v39
	v_mov_b32_e32 v13, v1
	v_lshlrev_b64 v[8:9], 3, v[0:1]
	v_add_co_u32 v10, vcc_lo, v36, v31
	v_mul_u32_u24_e32 v15, 0x546, v14
	v_add_co_ci_u32_e32 v11, vcc_lo, v37, v32, vcc_lo
	v_add_nc_u32_e32 v12, 0x546, v0
	v_add_co_u32 v8, vcc_lo, v36, v8
	v_add_nc_u32_e32 v0, 0xa8c, v0
	v_sub_nc_u32_e32 v15, v38, v15
	v_add_co_ci_u32_e32 v9, vcc_lo, v37, v9, vcc_lo
	v_lshlrev_b64 v[12:13], 3, v[12:13]
	global_store_dwordx2 v[10:11], v[19:20], off
	global_store_dwordx2 v[8:9], v[27:28], off
	v_lshlrev_b64 v[8:9], 3, v[0:1]
	v_mad_u32_u24 v0, 0xfd2, v14, v15
	v_mov_b32_e32 v15, v1
	v_add_co_u32 v10, vcc_lo, v36, v12
	v_add_co_ci_u32_e32 v11, vcc_lo, v37, v13, vcc_lo
	v_add_nc_u32_e32 v14, 0x546, v0
	v_lshlrev_b64 v[12:13], 3, v[0:1]
	v_add_nc_u32_e32 v0, 0xa8c, v0
	v_add_co_u32 v8, vcc_lo, v36, v8
	v_lshlrev_b64 v[14:15], 3, v[14:15]
	v_add_co_ci_u32_e32 v9, vcc_lo, v37, v9, vcc_lo
	v_add_co_u32 v12, vcc_lo, v36, v12
	v_lshlrev_b64 v[0:1], 3, v[0:1]
	v_add_co_ci_u32_e32 v13, vcc_lo, v37, v13, vcc_lo
	v_add_co_u32 v14, vcc_lo, v36, v14
	v_add_co_ci_u32_e32 v15, vcc_lo, v37, v15, vcc_lo
	v_add_co_u32 v0, vcc_lo, v36, v0
	v_add_co_ci_u32_e32 v1, vcc_lo, v37, v1, vcc_lo
	global_store_dwordx2 v[10:11], v[25:26], off
	global_store_dwordx2 v[8:9], v[21:22], off
	;; [unrolled: 1-line block ×5, first 2 shown]
.LBB0_15:
	s_endpgm
	.section	.rodata,"a",@progbits
	.p2align	6, 0x0
	.amdhsa_kernel fft_rtc_back_len4050_factors_10_5_3_3_3_3_wgs_135_tpt_135_halfLds_sp_op_CI_CI_unitstride_sbrr_dirReg
		.amdhsa_group_segment_fixed_size 0
		.amdhsa_private_segment_fixed_size 0
		.amdhsa_kernarg_size 104
		.amdhsa_user_sgpr_count 6
		.amdhsa_user_sgpr_private_segment_buffer 1
		.amdhsa_user_sgpr_dispatch_ptr 0
		.amdhsa_user_sgpr_queue_ptr 0
		.amdhsa_user_sgpr_kernarg_segment_ptr 1
		.amdhsa_user_sgpr_dispatch_id 0
		.amdhsa_user_sgpr_flat_scratch_init 0
		.amdhsa_user_sgpr_private_segment_size 0
		.amdhsa_wavefront_size32 1
		.amdhsa_uses_dynamic_stack 0
		.amdhsa_system_sgpr_private_segment_wavefront_offset 0
		.amdhsa_system_sgpr_workgroup_id_x 1
		.amdhsa_system_sgpr_workgroup_id_y 0
		.amdhsa_system_sgpr_workgroup_id_z 0
		.amdhsa_system_sgpr_workgroup_info 0
		.amdhsa_system_vgpr_workitem_id 0
		.amdhsa_next_free_vgpr 146
		.amdhsa_next_free_sgpr 27
		.amdhsa_reserve_vcc 1
		.amdhsa_reserve_flat_scratch 0
		.amdhsa_float_round_mode_32 0
		.amdhsa_float_round_mode_16_64 0
		.amdhsa_float_denorm_mode_32 3
		.amdhsa_float_denorm_mode_16_64 3
		.amdhsa_dx10_clamp 1
		.amdhsa_ieee_mode 1
		.amdhsa_fp16_overflow 0
		.amdhsa_workgroup_processor_mode 1
		.amdhsa_memory_ordered 1
		.amdhsa_forward_progress 0
		.amdhsa_shared_vgpr_count 0
		.amdhsa_exception_fp_ieee_invalid_op 0
		.amdhsa_exception_fp_denorm_src 0
		.amdhsa_exception_fp_ieee_div_zero 0
		.amdhsa_exception_fp_ieee_overflow 0
		.amdhsa_exception_fp_ieee_underflow 0
		.amdhsa_exception_fp_ieee_inexact 0
		.amdhsa_exception_int_div_zero 0
	.end_amdhsa_kernel
	.text
.Lfunc_end0:
	.size	fft_rtc_back_len4050_factors_10_5_3_3_3_3_wgs_135_tpt_135_halfLds_sp_op_CI_CI_unitstride_sbrr_dirReg, .Lfunc_end0-fft_rtc_back_len4050_factors_10_5_3_3_3_3_wgs_135_tpt_135_halfLds_sp_op_CI_CI_unitstride_sbrr_dirReg
                                        ; -- End function
	.section	.AMDGPU.csdata,"",@progbits
; Kernel info:
; codeLenInByte = 20008
; NumSgprs: 29
; NumVgprs: 146
; ScratchSize: 0
; MemoryBound: 0
; FloatMode: 240
; IeeeMode: 1
; LDSByteSize: 0 bytes/workgroup (compile time only)
; SGPRBlocks: 3
; VGPRBlocks: 18
; NumSGPRsForWavesPerEU: 29
; NumVGPRsForWavesPerEU: 146
; Occupancy: 6
; WaveLimiterHint : 1
; COMPUTE_PGM_RSRC2:SCRATCH_EN: 0
; COMPUTE_PGM_RSRC2:USER_SGPR: 6
; COMPUTE_PGM_RSRC2:TRAP_HANDLER: 0
; COMPUTE_PGM_RSRC2:TGID_X_EN: 1
; COMPUTE_PGM_RSRC2:TGID_Y_EN: 0
; COMPUTE_PGM_RSRC2:TGID_Z_EN: 0
; COMPUTE_PGM_RSRC2:TIDIG_COMP_CNT: 0
	.text
	.p2alignl 6, 3214868480
	.fill 48, 4, 3214868480
	.type	__hip_cuid_15241d69a8354919,@object ; @__hip_cuid_15241d69a8354919
	.section	.bss,"aw",@nobits
	.globl	__hip_cuid_15241d69a8354919
__hip_cuid_15241d69a8354919:
	.byte	0                               ; 0x0
	.size	__hip_cuid_15241d69a8354919, 1

	.ident	"AMD clang version 19.0.0git (https://github.com/RadeonOpenCompute/llvm-project roc-6.4.0 25133 c7fe45cf4b819c5991fe208aaa96edf142730f1d)"
	.section	".note.GNU-stack","",@progbits
	.addrsig
	.addrsig_sym __hip_cuid_15241d69a8354919
	.amdgpu_metadata
---
amdhsa.kernels:
  - .args:
      - .actual_access:  read_only
        .address_space:  global
        .offset:         0
        .size:           8
        .value_kind:     global_buffer
      - .offset:         8
        .size:           8
        .value_kind:     by_value
      - .actual_access:  read_only
        .address_space:  global
        .offset:         16
        .size:           8
        .value_kind:     global_buffer
      - .actual_access:  read_only
        .address_space:  global
        .offset:         24
        .size:           8
        .value_kind:     global_buffer
      - .actual_access:  read_only
        .address_space:  global
        .offset:         32
        .size:           8
        .value_kind:     global_buffer
      - .offset:         40
        .size:           8
        .value_kind:     by_value
      - .actual_access:  read_only
        .address_space:  global
        .offset:         48
        .size:           8
        .value_kind:     global_buffer
      - .actual_access:  read_only
        .address_space:  global
        .offset:         56
        .size:           8
        .value_kind:     global_buffer
      - .offset:         64
        .size:           4
        .value_kind:     by_value
      - .actual_access:  read_only
        .address_space:  global
        .offset:         72
        .size:           8
        .value_kind:     global_buffer
      - .actual_access:  read_only
        .address_space:  global
        .offset:         80
        .size:           8
        .value_kind:     global_buffer
      - .actual_access:  read_only
        .address_space:  global
        .offset:         88
        .size:           8
        .value_kind:     global_buffer
      - .actual_access:  write_only
        .address_space:  global
        .offset:         96
        .size:           8
        .value_kind:     global_buffer
    .group_segment_fixed_size: 0
    .kernarg_segment_align: 8
    .kernarg_segment_size: 104
    .language:       OpenCL C
    .language_version:
      - 2
      - 0
    .max_flat_workgroup_size: 135
    .name:           fft_rtc_back_len4050_factors_10_5_3_3_3_3_wgs_135_tpt_135_halfLds_sp_op_CI_CI_unitstride_sbrr_dirReg
    .private_segment_fixed_size: 0
    .sgpr_count:     29
    .sgpr_spill_count: 0
    .symbol:         fft_rtc_back_len4050_factors_10_5_3_3_3_3_wgs_135_tpt_135_halfLds_sp_op_CI_CI_unitstride_sbrr_dirReg.kd
    .uniform_work_group_size: 1
    .uses_dynamic_stack: false
    .vgpr_count:     146
    .vgpr_spill_count: 0
    .wavefront_size: 32
    .workgroup_processor_mode: 1
amdhsa.target:   amdgcn-amd-amdhsa--gfx1030
amdhsa.version:
  - 1
  - 2
...

	.end_amdgpu_metadata
